;; amdgpu-corpus repo=ROCm/Tensile kind=harvested arch=n/a opt=n/a

/******************************************/
/* Function Prefix                        */
/******************************************/



/******************************************/
/* Begin Kernel                           */
/******************************************/

// Component.Signature.SignatureDefault
.amdgcn_target "amdgcn-amd-amdhsa--gfx942"
.text
.protected Cijk_Ailk_Bjlk_SB_MT128x32x64_MI16x16x4x1_SN_1LDSB1_APM1_AF0EM1_AF1EM1_AMAS3_ASGT263_ASLT0129_165_ASEM1_BL1_BS1_CLR0_DTVA0_DTVB0_ETSP_EPS1_ELFLR0_EMLL0_FSSC10_FL0_GLVWA4_GLVWB4_GRCGA1_GRCGB1_GRVW4_GSU1_GSUASB_GLS0_IU1_K1_LBSPPA0_LBSPPB0_LPA0_LPB0_LRVW1_MIAV1_MKFGSU256_NTA0_NTB0_NTC3_NTD3_NEPBS0_NLCA1_NLCB1_ONLL1_PK0_PGR2_PLR17_PKA0_SIA3_SS1_SU0_SUM0_SUS0_SPO1_SRVW0_SSO4_SVW2_TSGRA0_TSGRB0_TT2_32_TLDS0_UMLDSA0_UMLDSB0_USFGROn1_VAW1_VSn1_VW2_VWB2_VFLRP0_WSGRA0_WSGRB0_WG64_4_1_WGM1
.globl Cijk_Ailk_Bjlk_SB_MT128x32x64_MI16x16x4x1_SN_1LDSB1_APM1_AF0EM1_AF1EM1_AMAS3_ASGT263_ASLT0129_165_ASEM1_BL1_BS1_CLR0_DTVA0_DTVB0_ETSP_EPS1_ELFLR0_EMLL0_FSSC10_FL0_GLVWA4_GLVWB4_GRCGA1_GRCGB1_GRVW4_GSU1_GSUASB_GLS0_IU1_K1_LBSPPA0_LBSPPB0_LPA0_LPB0_LRVW1_MIAV1_MKFGSU256_NTA0_NTB0_NTC3_NTD3_NEPBS0_NLCA1_NLCB1_ONLL1_PK0_PGR2_PLR17_PKA0_SIA3_SS1_SU0_SUM0_SUS0_SPO1_SRVW0_SSO4_SVW2_TSGRA0_TSGRB0_TT2_32_TLDS0_UMLDSA0_UMLDSB0_USFGROn1_VAW1_VSn1_VW2_VWB2_VFLRP0_WSGRA0_WSGRB0_WG64_4_1_WGM1
.p2align 8
.type Cijk_Ailk_Bjlk_SB_MT128x32x64_MI16x16x4x1_SN_1LDSB1_APM1_AF0EM1_AF1EM1_AMAS3_ASGT263_ASLT0129_165_ASEM1_BL1_BS1_CLR0_DTVA0_DTVB0_ETSP_EPS1_ELFLR0_EMLL0_FSSC10_FL0_GLVWA4_GLVWB4_GRCGA1_GRCGB1_GRVW4_GSU1_GSUASB_GLS0_IU1_K1_LBSPPA0_LBSPPB0_LPA0_LPB0_LRVW1_MIAV1_MKFGSU256_NTA0_NTB0_NTC3_NTD3_NEPBS0_NLCA1_NLCB1_ONLL1_PK0_PGR2_PLR17_PKA0_SIA3_SS1_SU0_SUM0_SUS0_SPO1_SRVW0_SSO4_SVW2_TSGRA0_TSGRB0_TT2_32_TLDS0_UMLDSA0_UMLDSB0_USFGROn1_VAW1_VSn1_VW2_VWB2_VFLRP0_WSGRA0_WSGRB0_WG64_4_1_WGM1,@function
.section .rodata,#alloc
.p2align 6
.amdhsa_kernel Cijk_Ailk_Bjlk_SB_MT128x32x64_MI16x16x4x1_SN_1LDSB1_APM1_AF0EM1_AF1EM1_AMAS3_ASGT263_ASLT0129_165_ASEM1_BL1_BS1_CLR0_DTVA0_DTVB0_ETSP_EPS1_ELFLR0_EMLL0_FSSC10_FL0_GLVWA4_GLVWB4_GRCGA1_GRCGB1_GRVW4_GSU1_GSUASB_GLS0_IU1_K1_LBSPPA0_LBSPPB0_LPA0_LPB0_LRVW1_MIAV1_MKFGSU256_NTA0_NTB0_NTC3_NTD3_NEPBS0_NLCA1_NLCB1_ONLL1_PK0_PGR2_PLR17_PKA0_SIA3_SS1_SU0_SUM0_SUS0_SPO1_SRVW0_SSO4_SVW2_TSGRA0_TSGRB0_TT2_32_TLDS0_UMLDSA0_UMLDSB0_USFGROn1_VAW1_VSn1_VW2_VWB2_VFLRP0_WSGRA0_WSGRB0_WG64_4_1_WGM1
  .amdhsa_user_sgpr_kernarg_segment_ptr 1
  .amdhsa_user_sgpr_kernarg_preload_offset 0
  .amdhsa_user_sgpr_kernarg_preload_length 0
  .amdhsa_user_sgpr_count 2
  .amdhsa_accum_offset 256 // accvgpr offset
  .amdhsa_next_free_vgpr 256 // vgprs
  .amdhsa_next_free_sgpr 58 // sgprs
  .amdhsa_group_segment_fixed_size 40960 // lds bytes
  .amdhsa_private_segment_fixed_size 0
  .amdhsa_system_sgpr_workgroup_id_x 1
  .amdhsa_system_sgpr_workgroup_id_y 1
  .amdhsa_system_sgpr_workgroup_id_z 1
  .amdhsa_system_vgpr_workitem_id 0
  .amdhsa_float_denorm_mode_32 3
  .amdhsa_float_denorm_mode_16_64 3
.end_amdhsa_kernel
.text

/******************************************/
/* Optimizations and Config:              */
/******************************************/
/* ThreadTile= 8 x 2 */
/* SubGroup= 16 x 16 */
/* VectorWidthA=2 */
/* VectorWidthB=2 */
/* GlobalLoadVectorWidthA=4, GlobalLoadVectorWidthB=4 */
/* DirectToLdsA=False */
/* DirectToLdsB=False */
/* UseSgprForGRO=False */
.amdgpu_metadata
---
amdhsa.version:
  - 1
  - 1
amdhsa.target: amdgcn-amd-amdhsa--gfx942
amdhsa.kernels:
  - .name: Cijk_Ailk_Bjlk_SB_MT128x32x64_MI16x16x4x1_SN_1LDSB1_APM1_AF0EM1_AF1EM1_AMAS3_ASGT263_ASLT0129_165_ASEM1_BL1_BS1_CLR0_DTVA0_DTVB0_ETSP_EPS1_ELFLR0_EMLL0_FSSC10_FL0_GLVWA4_GLVWB4_GRCGA1_GRCGB1_GRVW4_GSU1_GSUASB_GLS0_IU1_K1_LBSPPA0_LBSPPB0_LPA0_LPB0_LRVW1_MIAV1_MKFGSU256_NTA0_NTB0_NTC3_NTD3_NEPBS0_NLCA1_NLCB1_ONLL1_PK0_PGR2_PLR17_PKA0_SIA3_SS1_SU0_SUM0_SUS0_SPO1_SRVW0_SSO4_SVW2_TSGRA0_TSGRB0_TT2_32_TLDS0_UMLDSA0_UMLDSB0_USFGROn1_VAW1_VSn1_VW2_VWB2_VFLRP0_WSGRA0_WSGRB0_WG64_4_1_WGM1
    .symbol: 'Cijk_Ailk_Bjlk_SB_MT128x32x64_MI16x16x4x1_SN_1LDSB1_APM1_AF0EM1_AF1EM1_AMAS3_ASGT263_ASLT0129_165_ASEM1_BL1_BS1_CLR0_DTVA0_DTVB0_ETSP_EPS1_ELFLR0_EMLL0_FSSC10_FL0_GLVWA4_GLVWB4_GRCGA1_GRCGB1_GRVW4_GSU1_GSUASB_GLS0_IU1_K1_LBSPPA0_LBSPPB0_LPA0_LPB0_LRVW1_MIAV1_MKFGSU256_NTA0_NTB0_NTC3_NTD3_NEPBS0_NLCA1_NLCB1_ONLL1_PK0_PGR2_PLR17_PKA0_SIA3_SS1_SU0_SUM0_SUS0_SPO1_SRVW0_SSO4_SVW2_TSGRA0_TSGRB0_TT2_32_TLDS0_UMLDSA0_UMLDSB0_USFGROn1_VAW1_VSn1_VW2_VWB2_VFLRP0_WSGRA0_WSGRB0_WG64_4_1_WGM1.kd'
    .language:                   OpenCL C
    .language_version:
      - 2
      - 0
    .args:
      - .name:            Tensor2dSizeA
        .size:            8
        .offset:          0
        .value_kind:      by_value
        .value_type:      u64
      - .name:            Tensor2dSizeB
        .size:            8
        .offset:          8
        .value_kind:      by_value
        .value_type:      u64
      - .name:            AddressD
        .size:            8
        .offset:          16
        .value_kind:      by_value
        .value_type:      u64
      - .name:            AddressC
        .size:            8
        .offset:          24
        .value_kind:      by_value
        .value_type:      u64
      - .name:            AddressA
        .size:            8
        .offset:          32
        .value_kind:      by_value
        .value_type:      u64
      - .name:            AddressB
        .size:            8
        .offset:          40
        .value_kind:      by_value
        .value_type:      u64
      - .name:            Alpha
        .size:            4
        .offset:          48
        .value_kind:      by_value
        .value_type:      u32
      - .name:            Beta
        .size:            4
        .offset:          52
        .value_kind:      by_value
        .value_type:      u32
      - .name:            StridesD
        .size:            8
        .offset:          56
        .value_kind:      by_value
        .value_type:      u64
      - .name:            StridesC
        .size:            8
        .offset:          64
        .value_kind:      by_value
        .value_type:      u64
      - .name:            StridesA
        .size:            8
        .offset:          72
        .value_kind:      by_value
        .value_type:      u64
      - .name:            StridesB
        .size:            8
        .offset:          80
        .value_kind:      by_value
        .value_type:      u64
      - .name:            SizesFree
        .size:            12
        .offset:          88
        .value_kind:      by_value
        .value_type:      u96
      - .name:            SizesSum
        .size:            4
        .offset:          100
        .value_kind:      by_value
        .value_type:      u32
      - .name:            NumWorkGroups0
        .size:            4
        .offset:          104
        .value_kind:      by_value
        .value_type:      u32
      - .name:            NumWorkGroups1
        .size:            4
        .offset:          108
        .value_kind:      by_value
        .value_type:      u32
    .group_segment_fixed_size:   40960
    .kernarg_segment_align:      8
    .kernarg_segment_size:       112
    .max_flat_workgroup_size:    256
    .private_segment_fixed_size: 0
    .sgpr_count:                 58
    .sgpr_spill_count:           0
    .vgpr_count:                 256
    .vgpr_spill_count:           0
    .wavefront_size:             64
...
.end_amdgpu_metadata
Cijk_Ailk_Bjlk_SB_MT128x32x64_MI16x16x4x1_SN_1LDSB1_APM1_AF0EM1_AF1EM1_AMAS3_ASGT263_ASLT0129_165_ASEM1_BL1_BS1_CLR0_DTVA0_DTVB0_ETSP_EPS1_ELFLR0_EMLL0_FSSC10_FL0_GLVWA4_GLVWB4_GRCGA1_GRCGB1_GRVW4_GSU1_GSUASB_GLS0_IU1_K1_LBSPPA0_LBSPPB0_LPA0_LPB0_LRVW1_MIAV1_MKFGSU256_NTA0_NTB0_NTC3_NTD3_NEPBS0_NLCA1_NLCB1_ONLL1_PK0_PGR2_PLR17_PKA0_SIA3_SS1_SU0_SUM0_SUS0_SPO1_SRVW0_SSO4_SVW2_TSGRA0_TSGRB0_TT2_32_TLDS0_UMLDSA0_UMLDSB0_USFGROn1_VAW1_VSn1_VW2_VWB2_VFLRP0_WSGRA0_WSGRB0_WG64_4_1_WGM1:

/******************************************/
/* Asm syntax workarounds                 */
/******************************************/
.macro _v_add_co_u32 dst:req, cc:req, src0:req, src1:req, dpp=
   v_add_co_u32 \dst, \cc, \src0, \src1 \dpp
.endm

.macro _v_add_u32 dst:req, src0:req, src1:req, dpp=
   v_add_u32 \dst, \src0, \src1 \dpp
.endm

.macro _v_add_i32 dst:req, src0:req, src1:req, dpp=
   v_add_i32 \dst, \src0, \src1 \dpp
.endm

.macro _v_addc_co_u32 dst:req, ccOut:req, src0:req, ccIn:req, src1:req, dpp=
   v_addc_co_u32 \dst, \ccOut, \src0, \ccIn, \src1 \dpp
.endm

.macro _v_sub_co_u32 dst:req, cc:req, src0:req, src1:req, dpp=
   v_sub_co_u32 \dst, \cc, \src0, \src1 \dpp
.endm

.macro _v_sub_u32 dst:req, src0:req, src1:req, dpp=
   v_sub_u32 \dst, \src0, \src1 \dpp
.endm

.macro _v_sub_i32 dst:req, src0:req, src1:req, dpp=
   v_sub_i32 \dst, \src0, \src1 \dpp
.endm

.macro _v_add_lshl_u32 dst:req, src0:req, src1:req, shiftCnt:req
    v_add_lshl_u32 \dst, \src0, \src1, \shiftCnt
.endm

.macro _v_lshl_add_u32 dst:req, src0:req, src1:req, shiftCnt:req
    v_lshl_add_u32 \dst, \src0, \src1, \shiftCnt
.endm

.macro _v_lshl_or_b32 dst:req, src0:req, shiftCnt:req, src1:req
    v_lshl_or_b32 \dst, \src0, \shiftCnt, \src1
.endm

.macro _v_dot2acc_f32_f16 dst, src0, src1
v_dot2c_f32_f16 \dst, \src0, \src1
.endm

.macro _v_cmpx_lt_i16 dst, src0, src1=
   v_cmpx_lt_i16 \dst, \src0, \src1 
.endm

.macro _v_cmpx_lt_i32 dst, src0, src1=
   v_cmpx_lt_i32 \dst, \src0, \src1 
.endm

.macro _v_cmpx_lt_i64 dst, src0, src1=
   v_cmpx_lt_i64 \dst, \src0, \src1 
.endm

.macro _v_cmpx_lt_u16 dst, src0, src1=
   v_cmpx_lt_u16 \dst, \src0, \src1 
.endm

.macro _v_cmpx_lt_u32 dst, src0, src1=
   v_cmpx_lt_u32 \dst, \src0, \src1 
.endm

.macro _v_cmpx_lt_u64 dst, src0, src1=
   v_cmpx_lt_u64 \dst, \src0, \src1 
.endm

.macro _v_cmpx_eq_i16 dst, src0, src1=
   v_cmpx_eq_i16 \dst, \src0, \src1 
.endm

.macro _v_cmpx_eq_i32 dst, src0, src1=
   v_cmpx_eq_i32 \dst, \src0, \src1 
.endm

.macro _v_cmpx_eq_i64 dst, src0, src1=
   v_cmpx_eq_i64 \dst, \src0, \src1 
.endm

.macro _v_cmpx_eq_u16 dst, src0, src1=
   v_cmpx_eq_u16 \dst, \src0, \src1 
.endm

.macro _v_cmpx_eq_u32 dst, src0, src1=
   v_cmpx_eq_u32 \dst, \src0, \src1 
.endm

.macro _v_cmpx_eq_u64 dst, src0, src1=
   v_cmpx_eq_u64 \dst, \src0, \src1 
.endm

.macro _v_cmpx_le_i16 dst, src0, src1=
   v_cmpx_le_i16 \dst, \src0, \src1 
.endm

.macro _v_cmpx_le_i32 dst, src0, src1=
   v_cmpx_le_i32 \dst, \src0, \src1 
.endm

.macro _v_cmpx_le_i64 dst, src0, src1=
   v_cmpx_le_i64 \dst, \src0, \src1 
.endm

.macro _v_cmpx_le_u16 dst, src0, src1=
   v_cmpx_le_u16 \dst, \src0, \src1 
.endm

.macro _v_cmpx_le_u32 dst, src0, src1=
   v_cmpx_le_u32 \dst, \src0, \src1 
.endm

.macro _v_cmpx_le_u64 dst, src0, src1=
   v_cmpx_le_u64 \dst, \src0, \src1 
.endm

.macro _v_cmpx_gt_i16 dst, src0, src1=
   v_cmpx_gt_i16 \dst, \src0, \src1 
.endm

.macro _v_cmpx_gt_i32 dst, src0, src1=
   v_cmpx_gt_i32 \dst, \src0, \src1 
.endm

.macro _v_cmpx_gt_i64 dst, src0, src1=
   v_cmpx_gt_i64 \dst, \src0, \src1 
.endm

.macro _v_cmpx_gt_u16 dst, src0, src1=
   v_cmpx_gt_u16 \dst, \src0, \src1 
.endm

.macro _v_cmpx_gt_u32 dst, src0, src1=
   v_cmpx_gt_u32 \dst, \src0, \src1 
.endm

.macro _v_cmpx_gt_u64 dst, src0, src1=
   v_cmpx_gt_u64 \dst, \src0, \src1 
.endm

.macro _v_cmpx_ne_i16 dst, src0, src1=
   v_cmpx_ne_i16 \dst, \src0, \src1 
.endm

.macro _v_cmpx_ne_i32 dst, src0, src1=
   v_cmpx_ne_i32 \dst, \src0, \src1 
.endm

.macro _v_cmpx_ne_i64 dst, src0, src1=
   v_cmpx_ne_i64 \dst, \src0, \src1 
.endm

.macro _v_cmpx_ne_u16 dst, src0, src1=
   v_cmpx_ne_u16 \dst, \src0, \src1 
.endm

.macro _v_cmpx_ne_u32 dst, src0, src1=
   v_cmpx_ne_u32 \dst, \src0, \src1 
.endm

.macro _v_cmpx_ne_u64 dst, src0, src1=
   v_cmpx_ne_u64 \dst, \src0, \src1 
.endm

.macro _v_cmpx_lg_i16 dst, src0, src1=
   v_cmpx_lg_i16 \dst, \src0, \src1 
.endm

.macro _v_cmpx_lg_i32 dst, src0, src1=
   v_cmpx_lg_i32 \dst, \src0, \src1 
.endm

.macro _v_cmpx_lg_i64 dst, src0, src1=
   v_cmpx_lg_i64 \dst, \src0, \src1 
.endm

.macro _v_cmpx_lg_u16 dst, src0, src1=
   v_cmpx_lg_u16 \dst, \src0, \src1 
.endm

.macro _v_cmpx_lg_u32 dst, src0, src1=
   v_cmpx_lg_u32 \dst, \src0, \src1 
.endm

.macro _v_cmpx_lg_u64 dst, src0, src1=
   v_cmpx_lg_u64 \dst, \src0, \src1 
.endm

.macro _v_cmpx_ge_i16 dst, src0, src1=
   v_cmpx_ge_i16 \dst, \src0, \src1 
.endm

.macro _v_cmpx_ge_i32 dst, src0, src1=
   v_cmpx_ge_i32 \dst, \src0, \src1 
.endm

.macro _v_cmpx_ge_i64 dst, src0, src1=
   v_cmpx_ge_i64 \dst, \src0, \src1 
.endm

.macro _v_cmpx_ge_u16 dst, src0, src1=
   v_cmpx_ge_u16 \dst, \src0, \src1 
.endm

.macro _v_cmpx_ge_u32 dst, src0, src1=
   v_cmpx_ge_u32 \dst, \src0, \src1 
.endm

.macro _v_cmpx_ge_u64 dst, src0, src1=
   v_cmpx_ge_u64 \dst, \src0, \src1 
.endm

.macro _v_cmpx_o_i16 dst, src0, src1=
   v_cmpx_o_i16 \dst, \src0, \src1 
.endm

.macro _v_cmpx_o_i32 dst, src0, src1=
   v_cmpx_o_i32 \dst, \src0, \src1 
.endm

.macro _v_cmpx_o_i64 dst, src0, src1=
   v_cmpx_o_i64 \dst, \src0, \src1 
.endm

.macro _v_cmpx_o_u16 dst, src0, src1=
   v_cmpx_o_u16 \dst, \src0, \src1 
.endm

.macro _v_cmpx_o_u32 dst, src0, src1=
   v_cmpx_o_u32 \dst, \src0, \src1 
.endm

.macro _v_cmpx_o_u64 dst, src0, src1=
   v_cmpx_o_u64 \dst, \src0, \src1 
.endm

.macro _v_cmpx_u_i16 dst, src0, src1=
   v_cmpx_u_i16 \dst, \src0, \src1 
.endm

.macro _v_cmpx_u_i32 dst, src0, src1=
   v_cmpx_u_i32 \dst, \src0, \src1 
.endm

.macro _v_cmpx_u_i64 dst, src0, src1=
   v_cmpx_u_i64 \dst, \src0, \src1 
.endm

.macro _v_cmpx_u_u16 dst, src0, src1=
   v_cmpx_u_u16 \dst, \src0, \src1 
.endm

.macro _v_cmpx_u_u32 dst, src0, src1=
   v_cmpx_u_u32 \dst, \src0, \src1 
.endm

.macro _v_cmpx_u_u64 dst, src0, src1=
   v_cmpx_u_u64 \dst, \src0, \src1 
.endm
.macro _v_mac_f32 c:req, a:req, b:req
    v_fmac_f32 \c, \a, \b
.endmacro

/* scale global load macros */
.macro _s_load_b32 dst base offset
    s_load_dword \dst \base \offset
.endm

.macro _s_load_b64 dst base offset
    s_load_dwordx2 \dst \base \offset
.endm

.macro _s_load_b128 dst base offset
    s_load_dwordx4 \dst \base \offset
.endm

.macro _s_load_b256 dst base offset
    s_load_dwordx8 \dst \base \offset
.endm

.macro _s_load_b512 dst base offset
    s_load_dwordx16 \dst \base \offset
.endm


/* ds operation macros */
.macro _ds_load_u8 dst src offset
    ds_read_u8 \dst \src \offset
.endm

.macro _ds_load_u8_d16_hi dst src offset
    ds_read_u8_d16_hi \dst \src \offset
.endm

.macro _ds_load_u16 dst src offset
    ds_read_u16 \dst \src \offset
.endm

.macro _ds_load_u16_d16_hi dst src offset
    ds_read_u16_d16_hi \dst \src \offset
.endm

.macro _ds_load_b32 dst src offset
    ds_read_b32 \dst \src \offset
.endm

.macro _ds_load_b64 dst src offset
    ds_read_b64 \dst \src \offset
.endm

.macro _ds_load_b128 dst src offset
    ds_read_b128 \dst \src \offset
.endm

.macro _ds_store_b8 dst src offset
    ds_write_b8 \dst \src \offset
.endm

.macro _ds_store_b8_d16_hi dst src offset
    ds_write_b8_d16_hi \dst \src \offset
.endm

.macro _ds_store_b16 dst src offset
    ds_write_b16 \dst \src \offset
.endm

.macro _ds_store_b16_d16_hi dst src offset
    ds_write_b16_d16_hi \dst \src \offset
.endm

.macro _ds_store_b32 dst src offset
    ds_write_b32 \dst \src \offset
.endm

.macro _ds_store_b64 dst src offset
    ds_write_b64 \dst \src \offset
.endm

.macro _ds_store_b128 dst src offset
    ds_write_b128 \dst \src \offset
.endm

.macro _ds_load2_b32 dst src offset1 offset2
    ds_read2_b32 \dst \src \offset1 \offset2
.endm

.macro _ds_load2_b64 dst src offset1 offset2
    ds_read2_b64 \dst \src \offset1 \offset2
.endm

.macro _ds_store2_b32 dst src offset1 offset2
    ds_write2_b32 \dst \src \offset1 \offset2
.endm

.macro _ds_store2_b64 dst src offset1 offset2
    ds_write2_b64 \dst \src \offset1 \offset2
.endm


/* buffer memory operation macros */
.macro _buffer_load_b32 dst voffset base soffset offen ioffset md0 md1 md2
    buffer_load_dword \dst \voffset \base \soffset \offen \ioffset \md0 \md1 \md2
.endm

.macro _buffer_load_b64 dst voffset base soffset offen ioffset md0 md1 md2
    buffer_load_dwordx2 \dst \voffset \base \soffset \offen \ioffset \md0 \md1 \md2
.endm

.macro _buffer_load_b96 dst voffset base soffset offen ioffset md0 md1 md2
    buffer_load_dwordx3 \dst \voffset \base \soffset \offen \ioffset \md0 \md1 \md2
.endm

.macro _buffer_load_b128 dst voffset base soffset offen ioffset md0 md1 md2
    buffer_load_dwordx4 \dst \voffset \base \soffset \offen \ioffset \md0 \md1 \md2
.endm

.macro _buffer_load_d16_b16 dst voffset base soffset offen ioffset md0 md1 md2
    buffer_load_short_d16 \dst \voffset \base \soffset \offen \ioffset \md0 \md1 \md2
.endm

.macro _buffer_load_d16_hi_b16 dst voffset base soffset offen ioffset md0 md1 md2
    buffer_load_short_d16_hi \dst \voffset \base \soffset \offen \ioffset \md0 \md1 \md2
.endm

.macro _buffer_load_d16_u8 dst voffset base soffset offen ioffset md0 md1 md2
    buffer_load_ubyte_d16 \dst \voffset \base \soffset \offen \ioffset \md0 \md1 \md2
.endm

.macro _buffer_load_d16_hi_u8 dst voffset base soffset offen ioffset md0 md1 md2
    buffer_load_ubyte_d16_hi \dst \voffset \base \soffset \offen \ioffset \md0 \md1 \md2
.endm

.macro _buffer_load_u16 dst voffset base soffset offen ioffset md0 md1 md2
    buffer_load_ushort \dst \voffset \base \soffset \offen \ioffset \md0 \md1 \md2
.endm

.macro _buffer_load_b32_dtl voffset base soffset offen ioffset md0 md1 md2
    buffer_load_dword \voffset \base \soffset \offen \ioffset \md0 \md1 \md2
.endm

.macro _buffer_load_b64_dtl voffset base soffset offen ioffset md0 md1 md2
    buffer_load_dwordx2 \voffset \base \soffset \offen \ioffset \md0 \md1 \md2
.endm

.macro _buffer_load_b128_dtl voffset base soffset offen ioffset md0 md1 md2
    buffer_load_dwordx4 \voffset \base \soffset \offen \ioffset \md0 \md1 \md2
.endm

.macro _buffer_load_u16_dtl voffset base soffset offen ioffset md0 md1 md2
    buffer_load_ushort \voffset \base \soffset \offen \ioffset \md0 \md1 \md2
.endm

.macro _buffer_store_b32 src voffset base soffset offen ioffset md0 md1 md2
    buffer_store_dword \src \voffset \base \soffset \offen \ioffset \md0 \md1 \md2
.endm

.macro _buffer_store_b64 src voffset base soffset offen ioffset md0 md1 md2
    buffer_store_dwordx2 \src \voffset \base \soffset \offen \ioffset \md0 \md1 \md2
.endm

.macro _buffer_store_b96 src voffset base soffset offen ioffset md0 md1 md2
    buffer_store_dwordx3 \src \voffset \base \soffset \offen \ioffset \md0 \md1 \md2
.endm

.macro _buffer_store_b128 src voffset base soffset offen ioffset md0 md1 md2
    buffer_store_dwordx4 \src \voffset \base \soffset \offen \ioffset \md0 \md1 \md2
.endm

.macro _buffer_store_b16 src voffset base soffset offen ioffset md0 md1 md2
    buffer_store_short \src \voffset \base \soffset \offen \ioffset \md0 \md1 \md2
.endm

.macro _buffer_store_d16_hi_b16 src voffset base soffset offen ioffset md0 md1 md2
    buffer_store_short_d16_hi \src \voffset \base \soffset \offen \ioffset \md0 \md1 \md2
.endm

.macro _buffer_store_b8 src voffset base soffset offen ioffset md0 md1 md2
    buffer_store_byte \src \voffset \base \soffset \offen \ioffset \md0 \md1 \md2
.endm

.macro _buffer_store_d16_hi_b8 src voffset base soffset offen ioffset md0 md1 md2
    buffer_store_byte_d16_hi \src \voffset \base \soffset \offen \ioffset \md0 \md1 \md2
.endm

.macro _buffer_atomic_cmpswap_b32 dst voffset base soffset offen ioffset md0 md1 md2
    buffer_atomic_cmpswap \dst \voffset \base \soffset \offen \ioffset \md0 \md1 \md2
.endm

.macro _buffer_atomic_cmpswap_b64 dst voffset base soffset offen ioffset md0 md1 md2
    buffer_atomic_cmpswap_x2 \dst \voffset \base \soffset \offen \ioffset \md0 \md1 \md2
.endm


/* buffer memory operation macros */
.macro _global_load_b32 dst base src ioffset md0 md1 md2
    global_load_dword \dst \base \src \ioffset \md0 \md1 \md2
.endm

.macro _global_load_b64 dst base src ioffset md0 md1 md2
    global_load_dwordx2 \dst \base \src \ioffset \md0 \md1 \md2
.endm

.macro _global_load_b96 dst base src ioffset md0 md1 md2
    global_load_dwordx3 \dst \base \src \ioffset \md0 \md1 \md2
.endm

.macro _global_load_b128 dst base src ioffset md0 md1 md2
    global_load_dwordx4 \dst \base \src \ioffset \md0 \md1 \md2
.endm

.macro _global_load_d16_b16 dst base src ioffset md0 md1 md2
    global_load_short_d16 \dst \base \src \ioffset \md0 \md1 \md2
.endm

.macro _global_load_d16_hi_b16 dst base src ioffset md0 md1 md2
    global_load_short_d16_hi \dst \base \src \ioffset \md0 \md1 \md2
.endm

.macro _global_load_d16_u8 dst base src ioffset md0 md1 md2
    global_load_ubyte_d16 \dst \base \src \ioffset \md0 \md1 \md2
.endm

.macro _global_load_d16_hi_u8 dst base src ioffset md0 md1 md2
    global_load_ubyte_d16_hi \dst \base \src \ioffset \md0 \md1 \md2
.endm

.macro _global_load_u16 dst base src ioffset md0 md1 md2
    global_load_ushort \dst \base \src \ioffset \md0 \md1 \md2
.endm

.macro _global_store_b32 base src src2 md0 md1 md2
    global_store_dword \base \src \src2 \md0 \md1 \md2
.endm

.macro _global_store_b64 base src src2 md0 md1 md2
    global_store_dwordx2 \base \src \src2 \md0 \md1 \md2
.endm

.macro _global_store_b96 base src src2 md0 md1 md2
    global_store_dwordx3 \base \src \src2 \md0 \md1 \md2
.endm

.macro _global_store_b128 base src src2 md0 md1 md2
    global_store_dwordx4 \base \src \src2 \md0 \md1 \md2
.endm

.macro _global_store_d16_b16 base src src2 md0 md1 md2
    global_store_short \base \src \src2 \md0 \md1 \md2
.endm

.macro _global_store_d16_hi_b16 base src src2 md0 md1 md2
    global_store_short_d16_hi \base \src \src2 \md0 \md1 \md2
.endm

.macro _global_store_d16_u8 base src src2 md0 md1 md2
    global_store_ubyte_d16 \base \src \src2 \md0 \md1 \md2
.endm

.macro _global_store_d16_hi_u8 base src src2 md0 md1 md2
    global_store_ubyte_d16_hi \base \src \src2 \md0 \md1 \md2
.endm

.macro _global_store_u16 base src src2 md0 md1 md2
    global_store_ushort \base \src \src2 \md0 \md1 \md2
.endm

.macro _global_atomic_cmpswap_b32 tmp base data src ioffset md
    global_atomic_cmpswap \tmp \base \data \src \ioffset \md
.endm

.macro _global_atomic_cmpswap_b64 tmp base data src ioffset md
    global_atomic_cmpswap_x2 \tmp \base \data \src \ioffset \md
.endm


/******************************************/
/* Magic div and mod functions            */
/******************************************/
.macro V_MAGIC_DIV dstIdx:req, dividend:req, magicNumber:req, magicShift:req, magicA:req
    v_mul_hi_u32 v[\dstIdx+1], \dividend, \magicNumber
    v_mul_lo_u32 v[\dstIdx+0], \dividend, \magicA
    _v_add_u32 v[\dstIdx+0], v[\dstIdx+0], v[\dstIdx+1]
    v_lshrrev_b32 v[\dstIdx+0], \magicShift, v[\dstIdx+0]
.endm

/******************************************/
/* VGPR Assignments                       */
/******************************************/
/* ValuC range: [0-16), serializedStore enabled */
.set vgprValuC, 0
/* ValuA/B   Xn=PLR buffer idx,  In=InnerUnroll idx */
.set vgprValuA_X0_I0, 16
.set vgprValuA_X1_I0, 18
.set vgprValuA_X2_I0, 20
.set vgprValuA_X3_I0, 22
.set vgprValuA_X4_I0, 24
.set vgprValuA_X5_I0, 26
.set vgprValuA_X6_I0, 28
.set vgprValuA_X7_I0, 30
.set vgprValuA_X8_I0, 32
.set vgprValuA_X9_I0, 34
.set vgprValuA_X10_I0, 36
.set vgprValuA_X11_I0, 38
.set vgprValuA_X12_I0, 40
.set vgprValuA_X13_I0, 42
.set vgprValuA_X14_I0, 44
.set vgprValuA_X15_I0, 46
.set vgprG2LA, 92
.set vgprValuB_X0_I0, 48
.set vgprValuB_X1_I0, 50
.set vgprValuB_X2_I0, 52
.set vgprValuB_X3_I0, 54
.set vgprValuB_X4_I0, 56
.set vgprValuB_X5_I0, 58
.set vgprValuB_X6_I0, 60
.set vgprValuB_X7_I0, 62
.set vgprValuB_X8_I0, 64
.set vgprValuB_X9_I0, 66
.set vgprValuB_X10_I0, 68
.set vgprValuB_X11_I0, 70
.set vgprValuB_X12_I0, 72
.set vgprValuB_X13_I0, 74
.set vgprValuB_X14_I0, 76
.set vgprValuB_X15_I0, 78
.set vgprG2LB, 124
.set vgprLocalWriteAddrA, 80
.set vgprLocalWriteAddrB, 81
.set vgprGlobalReadOffsetA, 82
.set vgprGlobalReadOffsetB, 90
.set vgprLocalReadAddrA, 132
.set vgprLocalReadAddrB, 133
.set vgprSerial, 134
/* Num VGPR=256 */
/* Num AccVGPR=0 */

/******************************************/
/* SGPR Assignments                       */
/******************************************/
.set sgprKernArgAddress, 0 // (2)
.set sgprWorkGroup0, 2 // (1)
.set sgprWorkGroup1, 3 // (1)
.set sgprWorkGroup2, 4 // (1)
.set sgprLoopCounterL, 5 // (1)
.set sgprOrigLoopCounter, 6 // (1)
.set sgprSrdA, 8 // (4)
.set sgprSrdB, 12 // (4)
.set sgprSrdD, 16 // (4)
.set sgprSrdC, 20 // (4)
.set sgprTensor2dSizeA, 24 // (2)
.set sgprTensor2dSizeB, 26 // (2)
.set sgprAddressD, 28 // (2)
.set sgprAddressC, 30 // (2)
.set sgprAddressA, 32 // (2)
.set sgprAddressB, 34 // (2)
.set sgprAlpha, 36 // (1)
.set sgprBeta, 37 // (1)
.set sgprStridesD, 38 // (2)
.set sgprStridesC, 40 // (2)
.set sgprStridesA, 42 // (2)
.set sgprStridesB, 44 // (2)
.set sgprSizesFree, 46 // (3)
.set sgprSizesSum, 49 // (1)
.set sgprNumWorkGroups0, 50 // (1)
.set sgprNumWorkGroups1, 51 // (1)
.set sgprShadowLimitA, 0 // (2)
.set sgprShadowLimitB, 28 // (2)
.set sgprGlobalReadIncsA, 7 // (1)
.set sgprGlobalReadIncsB, 30 // (1)
/* max SGPR=58 */

/* Size Assignments */
.set sgprSizeI, sgprSizesFree+0
.set sgprSizeJ, sgprSizesFree+1
.set sgprSizeK, sgprSizesFree+2
.set sgprSizeL, sgprSizesSum+0

/* Stride Assignments */
.set constStrideD0I, 1
.set sgprStrideD1J, sgprStridesD+0
.set sgprStrideDK, sgprStridesD+1
.set constStrideC0I, 1
.set sgprStrideC1J, sgprStridesC+0
.set sgprStrideCK, sgprStridesC+1
.set constStrideA0I, 1
.set sgprStrideAL, sgprStridesA+0
.set sgprStrideAK, sgprStridesA+1
.set constStrideB1J, 1
.set sgprStrideBL, sgprStridesB+0
.set sgprStrideBK, sgprStridesB+1

.set MT0, 128
.set MT1, 32
.set DepthU, 64
.set GSU, 1
.set BpeA, 4
.set BpeALog2, 2
.set BpeB, 4
.set BpeBLog2, 2
/* Number of elements to shift-left SRD */
.set SrdShiftLeftA, 4
.set SrdShiftLeftB, 4
/* 2GB limit - set offsets to -1 to exceed this and clamp */
.set BufferLimitA, 0xffffffff
.set BufferLimitB, 0xffffffff
.set BufferOOB, 0xfffff000

/******************************************/
/* Bits 127:96 of SRD.                    */
/* hex: 0x00020000                        */
/* dst_sel_x (3b): 0                      */
/* dst_sel_y (3b): 0                      */
/* dst_sel_z (3b): 0                      */
/* dst_sel_w (3b): 0                      */
/* num_format (3b): 0                     */
/* data_format (4b): 4                    */
/* user_vm_enable (1b): 0                 */
/* user_vm_mode (1b): 0                   */
/* index_stride (2b): 0                   */
/* add_tid_enable (1b): 0                 */
/* _unusedA (3b): 0                       */
/* nv (1b): 0                             */
/* _unusedB (2b): 0                       */
/* type (2b): 0                           */
/******************************************/
.set Srd127_96, 0x00020000

/* Global Offset A */
.macro GLOBAL_OFFSET_A vgprAddr:req vgprOffset0I:req vgprOffsetL:req vgprTmp:req
v_mul_lo_u32 v[\vgprTmp+0], s[sgprStrideAL], v[\vgprOffsetL] // mul d1 lower
_v_add_co_u32 v[\vgprAddr+0], vcc, v[\vgprOffset0I], v[\vgprTmp+0] // accumulate K lower
_v_add_u32 v[\vgprAddr+0], 0x4, v[\vgprAddr+0]     // add prepad for pointer shift
v_lshlrev_b32 v[\vgprAddr+0], 0x2, v[\vgprAddr+0]  // offset *= bytes/element
.endm

/* Global Offset B */
.macro GLOBAL_OFFSET_B vgprAddr:req vgprOffset1J:req vgprOffsetL:req vgprTmp:req
v_mul_lo_u32 v[\vgprTmp+0], s[sgprStrideBL], v[\vgprOffsetL] // mul d1 lower
_v_add_co_u32 v[\vgprAddr+0], vcc, v[\vgprOffset1J], v[\vgprTmp+0] // accumulate K lower
_v_add_u32 v[\vgprAddr+0], 0x4, v[\vgprAddr+0]     // add prepad for pointer shift
v_lshlrev_b32 v[\vgprAddr+0], 0x2, v[\vgprAddr+0]  // offset *= bytes/element
.endm

/******************************************/
/* Dynamic Scalar Divide: vQuotient=vDividend/vDivisor; vRemainder=vDividend%vDivisor; */
/******************************************/
.macro DYNAMIC_VECTOR_DIVIDE vQuotient vRemainder vDividend vDivisor vTmp0 vTmp1 sTmp
v_cvt_f32_u32 v[\vQuotient], v[\vDivisor]          // 
v_rcp_f32 v[\vQuotient], v[\vQuotient]             // 
v_mul_f32 v[\vQuotient], 0x4f800000, v[\vQuotient] // 
v_cvt_u32_f32 v[\vQuotient], v[\vQuotient]         // 
v_mul_lo_u32 v[\vRemainder], v[\vDivisor], v[\vQuotient] // 
v_mul_hi_u32 v[\vTmp0], v[\vDivisor], v[\vQuotient] // 
_v_sub_co_u32 v[\vTmp1], vcc, 0x0, v[\vRemainder]  // 
v_cmp_ne_i32 s[\sTmp:\sTmp+1], 0x0, v[\vTmp0]      // 
v_cndmask_b32 v[\vRemainder], v[\vTmp1], v[\vRemainder], s[\sTmp:\sTmp+1] // 
v_mul_hi_u32 v[\vRemainder], v[\vRemainder], v[\vQuotient] // 
_v_sub_co_u32 v[\vTmp0], vcc, v[\vQuotient], v[\vRemainder] // 
_v_add_co_u32 v[\vQuotient], vcc, v[\vQuotient], v[\vRemainder] // 
v_cndmask_b32 v[\vQuotient], v[\vQuotient], v[\vTmp0], s[\sTmp:\sTmp+1] // 
v_mul_hi_u32 v[\vQuotient], v[\vQuotient], v[\vDividend] // 
v_mul_lo_u32 v[\vRemainder], v[\vQuotient], v[\vDivisor] // 
_v_sub_co_u32 v[\vTmp0], vcc, v[\vDividend], v[\vRemainder] // 
v_cmp_ge_u32 s[\sTmp:\sTmp+1], v[\vDividend], v[\vRemainder] // 
_v_add_co_u32 v[\vRemainder], vcc, 0x1, v[\vQuotient] // 
_v_add_co_u32 v[\vTmp1], vcc, -1, v[\vQuotient]    // 
v_cmp_le_u32 vcc, v[\vDivisor], v[\vTmp0]          // 
s_and_b64 vcc, s[\sTmp:\sTmp+1], vcc               // 
v_cndmask_b32 v[\vQuotient], v[\vQuotient], v[\vRemainder], vcc // 
v_cndmask_b32 v[\vQuotient], v[\vTmp1], v[\vQuotient], s[\sTmp:\sTmp+1] // 
v_cmp_ne_i32 vcc, 0x0, v[\vDivisor]                // 
v_cndmask_b32 v[\vQuotient], -1, v[\vQuotient], vcc // final result
v_mul_lo_u32 v[\vRemainder], v[\vQuotient], v[\vDivisor] // 
_v_sub_co_u32 v[\vRemainder], vcc, v[\vDividend], v[\vRemainder] // final result
.endm


	;; [unrolled: 1-line block ×3, first 2 shown]
/******************************************/
/* Allocate Resources                     */
/******************************************/

Cijk_Ailk_Bjlk_SB_MT128x32x64_MI16x16x4x1_SN_1LDSB1_APM1_AF0EM1_AF1EM1_AMAS3_ASGT263_ASLT0129_165_ASEM1_BL1_BS1_CLR0_DTVA0_DTVB0_ETSP_EPS1_ELFLR0_EMLL0_FSSC10_FL0_GLVWA4_GLVWB4_GRCGA1_GRCGB1_GRVW4_GSU1_GSUASB_GLS0_IU1_K1_LBSPPA0_LBSPPB0_LPA0_LPB0_LRVW1_MIAV1_MKFGSU256_NTA0_NTB0_NTC3_NTD3_NEPBS0_NLCA1_NLCB1_ONLL1_PK0_PGR2_PLR17_PKA0_SIA3_SS1_SU0_SUM0_SUS0_SPO1_SRVW0_SSO4_SVW2_TSGRA0_TSGRB0_TT2_32_TLDS0_UMLDSA0_UMLDSB0_USFGROn1_VAW1_VSn1_VW2_VWB2_VFLRP0_WSGRA0_WSGRB0_WG64_4_1_WGM1_preloaded: // Kernel start when preloading
s_setprio 3                                        // optimization store

/* Load Kernel Args */
_s_load_b512 s[24:39], s[sgprKernArgAddress:sgprKernArgAddress+1], 0x0 // 
_s_load_b256 s[40:47], s[sgprKernArgAddress:sgprKernArgAddress+1], 0x40 // 
_s_load_b128 s[48:51], s[sgprKernArgAddress:sgprKernArgAddress+1], 0x60 // 
s_mov_b32 m0, 0xa000                               // LDS clamp at 40960 bytes
v_mov_b32 v[vgprSerial], v0                        // thread serial id

/******************************************/
/* Local Read Addresses                   */
/******************************************/


/* local read addresses: tile assignments a/b */

/*lr0I*/
v_and_b32 v1, 63, v[vgprSerial]                    // 0. thread id in wave: wtid = tid % wavelength(64)
v_and_b32 v0, 15, v1                               // 1. N offset: nIdx = wtid % MI_N(16)
                                                   // 1. N offset: nOffset = nIdx * nStride(1) (multiplier is 1, do nothing)
                                                   // 2. block offset: bnIdx = bnIdx % num1DBlocks(1) is 0. do nothing
v_lshlrev_b32 v0, 0x1, v0                          // 4. apply VectorWidth: bnOffset = bnOffset * vw(2)
v_lshrrev_b32 v1, 4, v1                            // 5. K offset: kIdx = wtid / (MIN(16) * MIBB(1))
v_lshlrev_b32 v1, 0x7, v1                          // 5. K offset: lrKOffset = kIdx * mStride(128)
_v_add_u32 v0, v1, v0                              // 6. offset in wave: lrOffset = bnOffset + lrKOffset
v_lshrrev_b32 v2, 6, v[vgprSerial]                 // 7. wave offset in N dimen: wtid = tid / dividedForWaveId(64)
v_and_b32 v1, 3, v2                                // 7. wave offset in M dimen: wtid0 = wtid / num1DWaves(4)
v_lshlrev_b32 v1, 0x5, v1                          // 7. wave offset in M dimen: wOffset = wtid0 * W0Stride(32)
_v_add_u32 v0, v1, v0                              // 8. final local read offset: flrOffset = lrOffset + WOffset
/*lr1J*/
v_and_b32 v2, 63, v[vgprSerial]                    // 0. thread id in wave: wtid = tid % wavelength(64)
v_and_b32 v1, 15, v2                               // 1. N offset: nIdx = wtid % MI_N(16)
                                                   // 1. N offset: nOffset = nIdx * nStride(1) (multiplier is 1, do nothing)
                                                   // 2. block offset: bnIdx = bnIdx % num1DBlocks(1) is 0. do nothing
v_lshlrev_b32 v1, 0x1, v1                          // 4. apply VectorWidth: bnOffset = bnOffset * vw(2)
v_lshrrev_b32 v2, 4, v2                            // 5. K offset: kIdx = wtid / (MIN(16) * MIBB(1))
v_lshlrev_b32 v2, 0x5, v2                          // 5. K offset: lrKOffset = kIdx * mStride(32)
_v_add_u32 v1, v2, v1                              // 6. offset in wave: lrOffset = bnOffset + lrKOffset


/* local read addresses: final offsets a */

v_lshlrev_b32 v[vgprLocalReadAddrA], 0x2, v0       // Final Offset: offset = (lro0)*bpe


/* local read addresses: final offsets b */

v_lshlrev_b32 v[vgprLocalReadAddrB], 0x2, v1       // Final Offset: offset = (lro1)*bpe


/* local read addresses: declare addresses a */

/* N/A */


/* local read addresses: declare addresses b */

_v_add_co_u32 v[vgprLocalReadAddrB+0], vcc, 0x8000, v[vgprLocalReadAddrB+0] //  += LdsOffsetB (lower)


/* global read addresses: tile offset assignment a */

/* LVCA = 32 */
/* v0 = (local)groA-tile = serial%LVCA (note (wgA*MTA) will be added to SRD) */
/* v1 = groA-unroll = serial/LVCA */
v_lshrrev_b32 v1, 5, v[vgprSerial]                 // v1 = v[vgprSerial] / 32
v_and_b32 v0, 31, v[vgprSerial]                    // v0 = v[vgprSerial] % 32
/* gro-tile *= glvw */
v_lshlrev_b32 v0, 0x2, v0                          // v0 = v0 * 4


/* global read addresses: tile offset assignment b */

/* LVCB = 8 */
/* v2 = (local)groB-tile = serial%LVCB (note (wgB*MTB) will be added to SRD) */
/* v3 = groB-unroll = serial/LVCB */
v_lshrrev_b32 v3, 3, v[vgprSerial]                 // v3 = v[vgprSerial] / 8
v_and_b32 v2, 7, v[vgprSerial]                     // v2 = v[vgprSerial] % 8
/* gro-tile *= glvw */
v_lshlrev_b32 v2, 0x2, v2                          // v2 = v2 * 4


/******************************************/
/* Local Write Addresses                  */
/******************************************/

/* lwaTileAssignmentA = v0 */

/* lwaTileAssignmentB = v2 */

/* lwaUnrollAssignmentA = v1 */

/* lwaUnrollAssignmentB = v3 */


/* local write addresses: first offset a */

v_mul_u32_u24 v[vgprLocalWriteAddrA], 0x80, v1     // lwAL**(MTA + PAD)
_v_add_lshl_u32 v[vgprLocalWriteAddrA], v0, v[vgprLocalWriteAddrA], 0x2 // lwFOA = (lwAA + lwAL*(MT0I+PAD))*bpe


/* local write addresses: first offset b */

v_mul_u32_u24 v[vgprLocalWriteAddrB], 0x20, v3     // lwBL**(MTB + PAD)
_v_add_lshl_u32 v[vgprLocalWriteAddrB], v2, v[vgprLocalWriteAddrB], 0x2 // lwFOB = (lwBB + lwBL*(MT1J+PAD))*bpe
_v_add_co_u32 v[vgprLocalWriteAddrB], vcc, 0x8000, v[vgprLocalWriteAddrB] // lwFOB = lwB1J + lwBL*MT1J + LDS_OFFSET_B=8192*4


	;; [unrolled: 1-line block ×7, first 2 shown]
s_waitcnt lgkmcnt(0)                               // wait for 112 bytes of kern args
s_mov_b64 s[sgprSrdC+0:sgprSrdC+0+1], s[sgprAddressC+0:sgprAddressC+0+1] // copy addressC
s_mov_b64 s[sgprSrdD+0:sgprSrdD+0+1], s[sgprAddressD+0:sgprAddressD+0+1] // copy addressD
s_sub_u32 s[sgprSrdA+0], s[sgprAddressA+0], 16     // pre-pad to make room for possible pointer shift
s_subb_u32 s[sgprSrdA+1], s[sgprAddressA+1], 0     // pre-pad to make room for possible pointer shift
s_sub_u32 s[sgprSrdB+0], s[sgprAddressB+0], 16     // pre-pad to make room for possible pointer shift
s_subb_u32 s[sgprSrdB+1], s[sgprAddressB+1], 0     // pre-pad to make room for possible pointer shift

.set AddressD, UNDEF
.set AddressC, UNDEF
.set AddressA, UNDEF
.set AddressB, UNDEF

/* Short circuit condition if Alpha == 0, then sumDims=0 */
v_cmp_eq_f32 vcc, s[sgprAlpha], 0.0                // Alpha == 0.0f ?
s_cbranch_vccz label_AlphaNonZero                  // branch if alpha != 0
s_mov_b32 s[sgprSizesSum+0], 0x0                   // Set summation dim=0 if Alpha == 0
label_AlphaNonZero:


	;; [unrolled: 1-line block ×3, first 2 shown]
/******************************************/
/* Begin setupNewTile, isPap=False           */
/******************************************/


/* global read addresses: work-group */

/* graWorkGroup mapping */


/* global read addresses: unroll assignment a */

/* v1 */


/* global read addresses: unroll assignment b */

/* v3 */


/* global read addresses: other free assignments */

/* s[sgprWorkGroup2] */


/* global read addresses: tile offsets a */

v_mov_b32 v4, v0                                   // groA0I_0


/* global read addresses: tile offsets b */

v_mov_b32 v5, v2                                   // groB1J_0


/* global read addresses: unroll offsets a */

v_mov_b32 v6, v1                                   // groAL_0
_v_add_co_u32 v7, vcc, 8, v6                       // groAL_1 + LSPA
_v_add_co_u32 v8, vcc, 8, v7                       // groAL_2 + LSPA
_v_add_co_u32 v9, vcc, 8, v8                       // groAL_3 + LSPA
_v_add_co_u32 v10, vcc, 8, v9                      // groAL_4 + LSPA
_v_add_co_u32 v11, vcc, 8, v10                     // groAL_5 + LSPA
_v_add_co_u32 v12, vcc, 8, v11                     // groAL_6 + LSPA
_v_add_co_u32 v13, vcc, 8, v12                     // groAL_7 + LSPA


/* global read addresses: unroll offsets b */

v_mov_b32 v14, v3                                  // groBL_0
_v_add_co_u32 v15, vcc, 32, v14                    // groBL_1 + LSPB


/* global read addresses: shift a */

s_mul_i32 s31, s[sgprWorkGroup0], 128              // WorkGroup[01] * MT
s_sub_u32 s31, s[sgprSizeI], s31                   // edge = Size0I - WG*MT
s_sub_u32 s31, s31, 4                              // edge -= margin(4)
v_mov_b32 v16, s31                                 // edge vgpr = Size0I- WG*MT - margin(4)
v_min_i32 v4, v16, v4                              // offset = (offset < edge) ? offset(v4) : edge(v16)


/* global read addresses: shift b */

s_mul_i32 s31, s[sgprWorkGroup1], 32               // WorkGroup[01] * MT
s_sub_u32 s31, s[sgprSizeJ], s31                   // edge = Size1J - WG*MT
s_sub_u32 s31, s31, 4                              // edge -= margin(4)
v_mov_b32 v16, s31                                 // edge vgpr = Size1J- WG*MT - margin(4)
v_min_i32 v5, v16, v5                              // offset = (offset < edge) ? offset(v5) : edge(v16)


/* global read addresses: final offsets a */

GLOBAL_OFFSET_A vgprGlobalReadOffsetA+0,  4,  6, 16 // gROA_0_0_0_0
GLOBAL_OFFSET_A vgprGlobalReadOffsetA+1,  4,  7, 16 // gROA_0_0_1_0
GLOBAL_OFFSET_A vgprGlobalReadOffsetA+2,  4,  8, 16 // gROA_0_0_2_0
GLOBAL_OFFSET_A vgprGlobalReadOffsetA+3,  4,  9, 16 // gROA_0_0_3_0
GLOBAL_OFFSET_A vgprGlobalReadOffsetA+4,  4, 10, 16 // gROA_0_0_4_0
GLOBAL_OFFSET_A vgprGlobalReadOffsetA+5,  4, 11, 16 // gROA_0_0_5_0
GLOBAL_OFFSET_A vgprGlobalReadOffsetA+6,  4, 12, 16 // gROA_0_0_6_0
GLOBAL_OFFSET_A vgprGlobalReadOffsetA+7,  4, 13, 16 // gROA_0_0_7_0


/* global read addresses: final offsets b */

GLOBAL_OFFSET_B vgprGlobalReadOffsetB+0,  5, 14, 6 // gROB_0_0_0_0
GLOBAL_OFFSET_B vgprGlobalReadOffsetB+1,  5, 15, 6 // gROB_0_0_1_0


/* global read addresses: addresses a */

/* max read offset = size[n] * stride[n-1] */
s_mul_hi_u32 s35, s[sgprWorkGroup0], 128           // WorkGroup[01] * MT
s_mul_i32 s34, s[sgprWorkGroup0], 128              // WorkGroup[01] * MT
s_sub_u32 s[sgprShadowLimitA+0], s[sgprTensor2dSizeA], s34 // sub tileStart
s_subb_u32 s[sgprShadowLimitA+1], s[sgprTensor2dSizeA+1], s35 // sub tileStart
s_lshl_b64 s[sgprShadowLimitA:sgprShadowLimitA+1], s[sgprShadowLimitA:sgprShadowLimitA+1], 0x2 // Set limit to use bytes
s_add_u32 s[sgprShadowLimitA+0], s[sgprShadowLimitA+0], 16 // extend limit for pre-pad
s_addc_u32 s[sgprShadowLimitA+1], s[sgprShadowLimitA+1], 0 // extend limit for pre-pad
s_cmp_eq_u32 s[sgprShadowLimitA+1], 0              // are we within 2^32?
s_cselect_b32 s[sgprSrdA+2], s[sgprShadowLimitA+0], BufferLimitA // Move shadow to real if we are within 2^32
s_mul_hi_u32 s33, s[sgprStrideAK], s[sgprWorkGroup2] // Stride*WG
s_mul_i32 s32, s[sgprStrideAK], s[sgprWorkGroup2]  // Stride*WG
s_add_u32 s34, s34, s32                            // accum wg term to tilestart
s_addc_u32 s35, s35, s33                           // accum wg term to tilestart
s_lshl_b64 s[34:35], s[34:35], 0x2                 // tileStart *= BPE
s_add_u32 s[sgprSrdA+0], s[sgprSrdA+0], s34        // SRD base = Address+ tileStart0
s_addc_u32 s[sgprSrdA+1], s[sgprSrdA+1], s35       // SRD base = Address+ tileStart1
s_mov_b32 s[sgprSrdA+3], Srd127_96                 // Set bits 127_96 in SRD


/* global read addresses: addresses b */

/* max read offset = size[n] * stride[n-1] */
s_mul_hi_u32 s35, s[sgprWorkGroup1], 32            // WorkGroup[01] * MT
s_mul_i32 s34, s[sgprWorkGroup1], 32               // WorkGroup[01] * MT
s_sub_u32 s[sgprShadowLimitB+0], s[sgprTensor2dSizeB], s34 // sub tileStart
s_subb_u32 s[sgprShadowLimitB+1], s[sgprTensor2dSizeB+1], s35 // sub tileStart
s_lshl_b64 s[sgprShadowLimitB:sgprShadowLimitB+1], s[sgprShadowLimitB:sgprShadowLimitB+1], 0x2 // Set limit to use bytes
s_add_u32 s[sgprShadowLimitB+0], s[sgprShadowLimitB+0], 16 // extend limit for pre-pad
s_addc_u32 s[sgprShadowLimitB+1], s[sgprShadowLimitB+1], 0 // extend limit for pre-pad
s_cmp_eq_u32 s[sgprShadowLimitB+1], 0              // are we within 2^32?
s_cselect_b32 s[sgprSrdB+2], s[sgprShadowLimitB+0], BufferLimitB // Move shadow to real if we are within 2^32
s_mul_hi_u32 s33, s[sgprStrideBK], s[sgprWorkGroup2] // Stride*WG
s_mul_i32 s32, s[sgprStrideBK], s[sgprWorkGroup2]  // Stride*WG
s_add_u32 s34, s34, s32                            // accum wg term to tilestart
s_addc_u32 s35, s35, s33                           // accum wg term to tilestart
s_lshl_b64 s[34:35], s[34:35], 0x2                 // tileStart *= BPE
s_add_u32 s[sgprSrdB+0], s[sgprSrdB+0], s34        // SRD base = Address+ tileStart0
s_addc_u32 s[sgprSrdB+1], s[sgprSrdB+1], s35       // SRD base = Address+ tileStart1
s_mov_b32 s[sgprSrdB+3], Srd127_96                 // Set bits 127_96 in SRD


/* global read addresses: increments a */

s_mul_i32 s[sgprGlobalReadIncsA+0], DepthU*BpeA, s[sgprStrideAL] // incrA unrollIdx)


/* global read addresses: increments b */

s_mul_i32 s[sgprGlobalReadIncsB+0], DepthU*BpeB, s[sgprStrideBL] // incrB unrollIdx)

/* declare loop num iterations */


s_lshr_b32 s[sgprLoopCounterL], s[sgprSizesSum+0], 6 // s[sgprLoopCounterL] = s[sgprSizesSum+0] / 64
s_mov_b32 s[sgprOrigLoopCounter], s[sgprLoopCounterL] // copy loop counter

/* local read addresses: init pointers a */


/* localReadInitPointers */

/* local read addresses: init pointers b */


/* localReadInitPointers */


/* prefetch: global -> local */

s_cmp_eq_u32 s[sgprLoopCounterL], 0                // at last iteration?
s_setprio 0                                        // optimization store
s_cbranch_scc1 ShadowInitStart_10                  // skip to ShadowInitStart iter b/c numIter==0


_buffer_load_b128 v[vgprG2LA+0:vgprG2LA+0+3], v[vgprGlobalReadOffsetA+0], s[sgprSrdA:sgprSrdA+3], 0, offen offset:0 // G -> Reg 0_0_0_0
_buffer_load_b128 v[vgprG2LA+4:vgprG2LA+4+3], v[vgprGlobalReadOffsetA+1], s[sgprSrdA:sgprSrdA+3], 0, offen offset:0 // G -> Reg 0_0_1_0
_buffer_load_b128 v[vgprG2LA+8:vgprG2LA+8+3], v[vgprGlobalReadOffsetA+2], s[sgprSrdA:sgprSrdA+3], 0, offen offset:0 // G -> Reg 0_0_2_0
_buffer_load_b128 v[vgprG2LA+12:vgprG2LA+12+3], v[vgprGlobalReadOffsetA+3], s[sgprSrdA:sgprSrdA+3], 0, offen offset:0 // G -> Reg 0_0_3_0
_buffer_load_b128 v[vgprG2LA+16:vgprG2LA+16+3], v[vgprGlobalReadOffsetA+4], s[sgprSrdA:sgprSrdA+3], 0, offen offset:0 // G -> Reg 0_0_4_0
_buffer_load_b128 v[vgprG2LA+20:vgprG2LA+20+3], v[vgprGlobalReadOffsetA+5], s[sgprSrdA:sgprSrdA+3], 0, offen offset:0 // G -> Reg 0_0_5_0
_buffer_load_b128 v[vgprG2LA+24:vgprG2LA+24+3], v[vgprGlobalReadOffsetA+6], s[sgprSrdA:sgprSrdA+3], 0, offen offset:0 // G -> Reg 0_0_6_0
_buffer_load_b128 v[vgprG2LA+28:vgprG2LA+28+3], v[vgprGlobalReadOffsetA+7], s[sgprSrdA:sgprSrdA+3], 0, offen offset:0 // G -> Reg 0_0_7_0


_buffer_load_b128 v[vgprG2LB+0:vgprG2LB+0+3], v[vgprGlobalReadOffsetB+0], s[sgprSrdB:sgprSrdB+3], 0, offen offset:0 // G -> Reg 0_0_0_0
_buffer_load_b128 v[vgprG2LB+4:vgprG2LB+4+3], v[vgprGlobalReadOffsetB+1], s[sgprSrdB:sgprSrdB+3], 0, offen offset:0 // G -> Reg 0_0_1_0


/* global read inc A loopL */
s_add_u32 s[sgprSrdA+0], s[sgprSrdA+0], s[sgprGlobalReadIncsA+0] // gra SRD += inc(lower)
s_addc_u32  s[sgprSrdA+1], s[sgprSrdA+1], 0        // gra SRD += inc(upper)
s_sub_u32 s[sgprShadowLimitA+0], s[sgprShadowLimitA+0], s[sgprGlobalReadIncsA+0] // limit -= inc)
s_subb_u32 s[sgprShadowLimitA+1], s[sgprShadowLimitA+1], 0 // limit -= inc)
s_cmp_eq_u32 s[sgprShadowLimitA+1], 0              // are we within 2^32?
s_cmov_b32 s[sgprSrdA+2], s[sgprShadowLimitA+0]    // Move shadow to real if we are within 2^32

/* global read inc B loopL */
s_add_u32 s[sgprSrdB+0], s[sgprSrdB+0], s[sgprGlobalReadIncsB+0] // gra SRD += inc(lower)
s_addc_u32  s[sgprSrdB+1], s[sgprSrdB+1], 0        // gra SRD += inc(upper)
s_sub_u32 s[sgprShadowLimitB+0], s[sgprShadowLimitB+0], s[sgprGlobalReadIncsB+0] // limit -= inc)
s_subb_u32 s[sgprShadowLimitB+1], s[sgprShadowLimitB+1], 0 // limit -= inc)
s_cmp_eq_u32 s[sgprShadowLimitB+1], 0              // are we within 2^32?
s_cmov_b32 s[sgprSrdB+2], s[sgprShadowLimitB+0]    // Move shadow to real if we are within 2^32


/******************************************/
/* End setupNewTile, isPap=False             */
/******************************************/

ShadowInitStart_10: // 

s_mov_b32 s[sgprSrdD+2], BufferOOB                 // 
s_mov_b32 s[sgprSrdD+3], Srd127_96                 // Set bits 127_96 in post-loop SRD

s_mov_b32 s[sgprSrdC+2], BufferOOB                 // 
s_mov_b32 s[sgprSrdC+3], Srd127_96                 // Set bits 127_96 in post-loop SRD


s_mul_i32 s34, MT1, s[sgprWorkGroup1]              // <- wg1*MT1
s_mul_hi_u32 s33, s34, s[sgprStrideC1J]            // CScale s34 by Stride
s_mul_i32 s32, s34, s[sgprStrideC1J]               // CScale s34 by Stride
s_lshl_b64 s[32:33], s[32:33], 2                   // scale by bpe
s_add_u32 s[sgprSrdC+0], s[sgprSrdC+0], s32        // add lo to SRD
s_addc_u32 s[sgprSrdC+1], s[sgprSrdC+1], s33       // add hi to SRD
s_mul_hi_u32 s33, s34, s[sgprStrideD1J]            // Scale s34 by Stride
s_mul_i32 s32, s34, s[sgprStrideD1J]               // Scale s34 by Stride
s_lshl_b64 s[32:33], s[32:33], 2                   // scale by bpe
s_add_u32 s[sgprSrdD+0], s[sgprSrdD+0], s32        // add lo to SRD
s_addc_u32 s[sgprSrdD+1], s[sgprSrdD+1], s33       // add hi to SRD

s_mul_hi_u32 s33, s[sgprWorkGroup2], s[sgprStrideCK] // CScale s[sgprWorkGroup2] by Stride
s_mul_i32 s32, s[sgprWorkGroup2], s[sgprStrideCK]  // CScale s[sgprWorkGroup2] by Stride
s_lshl_b64 s[32:33], s[32:33], 2                   // scale by bpe
s_add_u32 s[sgprSrdC+0], s[sgprSrdC+0], s32        // add lo to SRD
s_addc_u32 s[sgprSrdC+1], s[sgprSrdC+1], s33       // add hi to SRD
s_mul_hi_u32 s33, s[sgprWorkGroup2], s[sgprStrideDK] // Scale s[sgprWorkGroup2] by Stride
s_mul_i32 s32, s[sgprWorkGroup2], s[sgprStrideDK]  // Scale s[sgprWorkGroup2] by Stride
s_lshl_b64 s[32:33], s[32:33], 2                   // scale by bpe
s_add_u32 s[sgprSrdD+0], s[sgprSrdD+0], s32        // add lo to SRD
s_addc_u32 s[sgprSrdD+1], s[sgprSrdD+1], s33       // add hi to SRD


	;; [unrolled: 1-line block ×3, first 2 shown]
/* initC: remove C-tile 0-16 from pool */

/* initC: remove AB-tile 16-80 from pool */
v_mov_b64 v[vgprValuC+0:vgprValuC+0+1], 0x0        // initC
v_mov_b64 v[vgprValuC+2:vgprValuC+2+1], 0x0        // initC
	;; [unrolled: 1-line block ×5, first 2 shown]
v_mov_b64 v[vgprValuC+10:vgprValuC+10+1], 0x0      // initC
v_mov_b64 v[vgprValuC+12:vgprValuC+12+1], 0x0      // initC
	;; [unrolled: 1-line block ×3, first 2 shown]

s_cmp_eq_u32 s[sgprLoopCounterL], 0                // at last iteration?

/* after InitC, skip to end of prefetch last iter if numIter==0 */
s_cbranch_scc0 label_NoBranch_11                   // Only branch on scc1
s_getpc_B64 s[32:33]                               // addr of next instr
s_add_i32 s34, PrefetchGlobalLastIterEnd_5, 0x4    // target branch offset
s_add_u32 s32, s32, s34                            // add target branch offset
s_addc_u32 s33, s33, 0                             // add high and carry
s_setpc_b64 s[32:33]                               // branch to PrefetchGlobalLastIterEnd_5
label_NoBranch_11:

s_waitcnt vmcnt(0)                                 // lgkmcnt=-1 vmcnt=0 8wait for global read


/* local write a */
_ds_store_b128 v[vgprLocalWriteAddrA], v[vgprG2LA+0:vgprG2LA+0+3] offset:0 // lwoA_0_0_0_0 = (0*LSCA) + (0*LSPA)(*MT0I+PAD) = 0
_ds_store_b128 v[vgprLocalWriteAddrA], v[vgprG2LA+4:vgprG2LA+4+3] offset:4096 // lwoA_0_0_1_0 = (0*LSCA) + (1*LSPA)(*MT0I+PAD) = 4096
_ds_store_b128 v[vgprLocalWriteAddrA], v[vgprG2LA+8:vgprG2LA+8+3] offset:8192 // lwoA_0_0_2_0 = (0*LSCA) + (2*LSPA)(*MT0I+PAD) = 8192
_ds_store_b128 v[vgprLocalWriteAddrA], v[vgprG2LA+12:vgprG2LA+12+3] offset:12288 // lwoA_0_0_3_0 = (0*LSCA) + (3*LSPA)(*MT0I+PAD) = 12288
_ds_store_b128 v[vgprLocalWriteAddrA], v[vgprG2LA+16:vgprG2LA+16+3] offset:16384 // lwoA_0_0_4_0 = (0*LSCA) + (4*LSPA)(*MT0I+PAD) = 16384
_ds_store_b128 v[vgprLocalWriteAddrA], v[vgprG2LA+20:vgprG2LA+20+3] offset:20480 // lwoA_0_0_5_0 = (0*LSCA) + (5*LSPA)(*MT0I+PAD) = 20480
_ds_store_b128 v[vgprLocalWriteAddrA], v[vgprG2LA+24:vgprG2LA+24+3] offset:24576 // lwoA_0_0_6_0 = (0*LSCA) + (6*LSPA)(*MT0I+PAD) = 24576
_ds_store_b128 v[vgprLocalWriteAddrA], v[vgprG2LA+28:vgprG2LA+28+3] offset:28672 // lwoA_0_0_7_0 = (0*LSCA) + (7*LSPA)(*MT0I+PAD) = 28672

/* local write b */
_ds_store_b128 v[vgprLocalWriteAddrB], v[vgprG2LB+0:vgprG2LB+0+3] offset:0 // lwoB_0_0_0_0 = (0*LSCB) + (0*LSPB)(*MT1J+PAD) = 0
_ds_store_b128 v[vgprLocalWriteAddrB], v[vgprG2LB+4:vgprG2LB+4+3] offset:4096 // lwoB_0_0_1_0 = (0*LSCB) + (1*LSPB)(*MT1J+PAD) = 4096


/* local write swap a */


	;; [unrolled: 1-line block ×3, first 2 shown]
/* local write swap b */


	;; [unrolled: 1-line block ×4, first 2 shown]
s_cmp_eq_u32 s[sgprLoopCounterL] 0x1               // PGR=2 but only 1 loop
s_cbranch_scc1 label_0012                          // PGR=2 but only 1 loop


_buffer_load_b128 v[vgprG2LA+0:vgprG2LA+0+3], v[vgprGlobalReadOffsetA+0], s[sgprSrdA:sgprSrdA+3], 0, offen offset:0 // G -> Reg 0_0_0_0
_buffer_load_b128 v[vgprG2LA+4:vgprG2LA+4+3], v[vgprGlobalReadOffsetA+1], s[sgprSrdA:sgprSrdA+3], 0, offen offset:0 // G -> Reg 0_0_1_0
_buffer_load_b128 v[vgprG2LA+8:vgprG2LA+8+3], v[vgprGlobalReadOffsetA+2], s[sgprSrdA:sgprSrdA+3], 0, offen offset:0 // G -> Reg 0_0_2_0
_buffer_load_b128 v[vgprG2LA+12:vgprG2LA+12+3], v[vgprGlobalReadOffsetA+3], s[sgprSrdA:sgprSrdA+3], 0, offen offset:0 // G -> Reg 0_0_3_0
_buffer_load_b128 v[vgprG2LA+16:vgprG2LA+16+3], v[vgprGlobalReadOffsetA+4], s[sgprSrdA:sgprSrdA+3], 0, offen offset:0 // G -> Reg 0_0_4_0
_buffer_load_b128 v[vgprG2LA+20:vgprG2LA+20+3], v[vgprGlobalReadOffsetA+5], s[sgprSrdA:sgprSrdA+3], 0, offen offset:0 // G -> Reg 0_0_5_0
_buffer_load_b128 v[vgprG2LA+24:vgprG2LA+24+3], v[vgprGlobalReadOffsetA+6], s[sgprSrdA:sgprSrdA+3], 0, offen offset:0 // G -> Reg 0_0_6_0
_buffer_load_b128 v[vgprG2LA+28:vgprG2LA+28+3], v[vgprGlobalReadOffsetA+7], s[sgprSrdA:sgprSrdA+3], 0, offen offset:0 // G -> Reg 0_0_7_0


_buffer_load_b128 v[vgprG2LB+0:vgprG2LB+0+3], v[vgprGlobalReadOffsetB+0], s[sgprSrdB:sgprSrdB+3], 0, offen offset:0 // G -> Reg 0_0_0_0
_buffer_load_b128 v[vgprG2LB+4:vgprG2LB+4+3], v[vgprGlobalReadOffsetB+1], s[sgprSrdB:sgprSrdB+3], 0, offen offset:0 // G -> Reg 0_0_1_0

label_0012:                                        // 

s_waitcnt lgkmcnt(0)                               // lgkmcnt=0 vmcnt=-10prefetch wait for local write

// Skip force waitcnt0
s_barrier //


/* local read prefetch a */

_ds_load_b32 v[vgprValuA_X0_I0+0], v[vgprLocalReadAddrA] offset:0 // L -> Reg lro=0 swapByteOffset=0 ti=128 vIdx=0 rIdx=0 oIdx=0 buffer=0 iui=0
_ds_load_b32 v[vgprValuA_X0_I0+1], v[vgprLocalReadAddrA] offset:4 // L -> Reg lro=0 swapByteOffset=0 ti=128 vIdx=0 rIdx=0 oIdx=0 buffer=0 iui=0


/* local read prefetch b */

_ds_load_b32 v[vgprValuB_X0_I0+0], v[vgprLocalReadAddrB] offset:0 // L -> Reg lro=0 swapByteOffset=0 ti=32 vIdx=0 rIdx=0 oIdx=0 buffer=0 iui=0
_ds_load_b32 v[vgprValuB_X0_I0+1], v[vgprLocalReadAddrB] offset:4 // L -> Reg lro=0 swapByteOffset=0 ti=32 vIdx=0 rIdx=0 oIdx=0 buffer=0 iui=0


/* local read inc a */

/* N/A, lro->512 */
/* self.localReadDoCntA 1 self.localReadDoCntB 1 */


/* local read inc b */

/* N/A, lro->128 */
/* self.localReadDoCntA 1 self.localReadDoCntB 1 */


	;; [unrolled: 1-line block ×3, first 2 shown]
/******************************************/
/* Unrolled Loop(s) - Begin               */
/******************************************/

openLoopL_13:
s_cmp_eq_u32 s[sgprLoopCounterL], 0x1              // LoopCounterL < EndCounter
s_cbranch_scc1 label_0014                          // PGR=2 but only 1 loop, toPGR1
s_cmp_le_u32 s[sgprLoopCounterL], 0x2              // LoopCounterL < EndCounter
s_cbranch_scc1 LoopEndL_evenexit_4                 // do not enter LoopL
LoopBeginL_1:


/******************************************/
/* Unrolled Loop 1/2 - Begin              */
/******************************************/

label_0015: // LoopCopy1 


/* Begin Each Unroll: Check VGPR.checkin for INT8 LW */


	;; [unrolled: 1-line block ×3, first 2 shown]
/* iter 0 */

/*  grEndMfmaIndex:4, lwStartMfmaIndex:33, lwEndMfmaIndex:58  */
/*  numMfmaForLR:3, barrierMfmaIndex:60, LocalWritePerMfma:0.375 */
/*  mfmaIndex:0  */
s_waitcnt lgkmcnt(0)                               // lgkmcnt=0 vmcnt=-1wait for prior local read local write old=0, new=0 newLW=0 newLR=0
v_mfma_f32_16x16x4_f32 v[0+0:3+0], v[vgprValuB_X0_I0+0+0+0], v[vgprValuA_X0_I0+0+0+0], v[0:3]
/*  mfmaIndex:1  */
_ds_load_b32 v[vgprValuA_X1_I0+0], v[vgprLocalReadAddrA] offset:2048 // L -> Reg lro=512 swapByteOffset=0 ti=128 vIdx=0 rIdx=0 oIdx=0 buffer=1 iui=0
_ds_load_b32 v[vgprValuB_X1_I0+0], v[vgprLocalReadAddrB] offset:512 // L -> Reg lro=128 swapByteOffset=0 ti=32 vIdx=0 rIdx=0 oIdx=0 buffer=1 iui=0

/* global read inc A loopL */
s_add_u32 s[sgprSrdA+0], s[sgprSrdA+0], s[sgprGlobalReadIncsA+0] // gra SRD += inc(lower)
s_addc_u32  s[sgprSrdA+1], s[sgprSrdA+1], 0        // gra SRD += inc(upper)
s_sub_u32 s[sgprShadowLimitA+0], s[sgprShadowLimitA+0], s[sgprGlobalReadIncsA+0] // limit -= inc)
v_mfma_f32_16x16x4_f32 v[4+0:7+0], v[vgprValuB_X0_I0+0+0+0], v[vgprValuA_X0_I0+1+0+0], v[4:7]
/*  mfmaIndex:2  */
_ds_load_b32 v[vgprValuA_X1_I0+1], v[vgprLocalReadAddrA] offset:2052 // L -> Reg lro=512 swapByteOffset=0 ti=128 vIdx=0 rIdx=0 oIdx=0 buffer=1 iui=0
_ds_load_b32 v[vgprValuB_X1_I0+1], v[vgprLocalReadAddrB] offset:516 // L -> Reg lro=128 swapByteOffset=0 ti=32 vIdx=0 rIdx=0 oIdx=0 buffer=1 iui=0
/* localReadsVacancy: latencyLeft 1 */
s_subb_u32 s[sgprShadowLimitA+1], s[sgprShadowLimitA+1], 0 // limit -= inc)
s_cmp_eq_u32 s[sgprShadowLimitA+1], 0              // are we within 2^32?
s_cmov_b32 s[sgprSrdA+2], s[sgprShadowLimitA+0]    // Move shadow to real if we are within 2^32
v_mfma_f32_16x16x4_f32 v[12+0:15+0], v[vgprValuB_X0_I0+1+0+0], v[vgprValuA_X0_I0+1+0+0], v[12:15]
/*  mfmaIndex:3  */
/* localReadsVacancy: latencyLeft 5 */
_ds_load_b32 v[vgprValuA_X2_I0+0], v[vgprLocalReadAddrA] offset:4096 // L -> Reg lro=1024 swapByteOffset=0 ti=128 vIdx=0 rIdx=0 oIdx=0 buffer=2 iui=0
_ds_load_b32 v[vgprValuB_X2_I0+0], v[vgprLocalReadAddrB] offset:1024 // L -> Reg lro=256 swapByteOffset=0 ti=32 vIdx=0 rIdx=0 oIdx=0 buffer=2 iui=0

/* global read inc B loopL */
s_add_u32 s[sgprSrdB+0], s[sgprSrdB+0], s[sgprGlobalReadIncsB+0] // gra SRD += inc(lower)
s_addc_u32  s[sgprSrdB+1], s[sgprSrdB+1], 0        // gra SRD += inc(upper)
s_sub_u32 s[sgprShadowLimitB+0], s[sgprShadowLimitB+0], s[sgprGlobalReadIncsB+0] // limit -= inc)
v_mfma_f32_16x16x4_f32 v[8+0:11+0], v[vgprValuB_X0_I0+1+0+0], v[vgprValuA_X0_I0+0+0+0], v[8:11]
/* numPrefetchIter=0 */
/* dataAtIterA=-1 numReadsIterA=1 skipReadsIterA=1 readsPerIterA=2 */
/* dataAtIterB=-1 numReadsIterB=1 skipReadsIterB=1 readsPerIterB=2 */


/* iter 1 */

/*  grEndMfmaIndex:4, lwStartMfmaIndex:33, lwEndMfmaIndex:58  */
/*  numMfmaForLR:3, barrierMfmaIndex:60, LocalWritePerMfma:0.375 */
/*  mfmaIndex:4  */
_ds_load_b32 v[vgprValuA_X2_I0+1], v[vgprLocalReadAddrA] offset:4100 // L -> Reg lro=1024 swapByteOffset=0 ti=128 vIdx=0 rIdx=0 oIdx=0 buffer=2 iui=0
_ds_load_b32 v[vgprValuB_X2_I0+1], v[vgprLocalReadAddrB] offset:1028 // L -> Reg lro=256 swapByteOffset=0 ti=32 vIdx=0 rIdx=0 oIdx=0 buffer=2 iui=0
/* localReadsVacancy: latencyLeft 1 */
s_subb_u32 s[sgprShadowLimitB+1], s[sgprShadowLimitB+1], 0 // limit -= inc)
s_cmp_eq_u32 s[sgprShadowLimitB+1], 0              // are we within 2^32?
s_cmov_b32 s[sgprSrdB+2], s[sgprShadowLimitB+0]    // Move shadow to real if we are within 2^32
s_waitcnt lgkmcnt(4)                               // lgkmcnt=0 vmcnt=-1wait for prior local read local write old=2, new=4 newLW=0 newLR=2
v_mfma_f32_16x16x4_f32 v[0+0:3+0], v[vgprValuB_X1_I0+0+0+0], v[vgprValuA_X1_I0+0+0+0], v[0:3]
/*  mfmaIndex:5  */
/* localReadsVacancy: latencyLeft 5 */
_ds_load_b32 v[vgprValuA_X3_I0+0], v[vgprLocalReadAddrA] offset:6144 // L -> Reg lro=1536 swapByteOffset=0 ti=128 vIdx=0 rIdx=0 oIdx=0 buffer=3 iui=0
_ds_load_b32 v[vgprValuB_X3_I0+0], v[vgprLocalReadAddrB] offset:1536 // L -> Reg lro=384 swapByteOffset=0 ti=32 vIdx=0 rIdx=0 oIdx=0 buffer=3 iui=0
v_mfma_f32_16x16x4_f32 v[4+0:7+0], v[vgprValuB_X1_I0+0+0+0], v[vgprValuA_X1_I0+1+0+0], v[4:7]
/*  mfmaIndex:6  */
/* localReadsVacancy: latencyLeft 5 */
_ds_load_b32 v[vgprValuA_X3_I0+1], v[vgprLocalReadAddrA] offset:6148 // L -> Reg lro=1536 swapByteOffset=0 ti=128 vIdx=0 rIdx=0 oIdx=0 buffer=3 iui=0
_ds_load_b32 v[vgprValuB_X3_I0+1], v[vgprLocalReadAddrB] offset:1540 // L -> Reg lro=384 swapByteOffset=0 ti=32 vIdx=0 rIdx=0 oIdx=0 buffer=3 iui=0
v_mfma_f32_16x16x4_f32 v[12+0:15+0], v[vgprValuB_X1_I0+1+0+0], v[vgprValuA_X1_I0+1+0+0], v[12:15]
/*  mfmaIndex:7  */
/* localReadsVacancy: latencyLeft 5 */
_ds_load_b32 v[vgprValuA_X4_I0+0], v[vgprLocalReadAddrA] offset:8192 // L -> Reg lro=2048 swapByteOffset=0 ti=128 vIdx=0 rIdx=0 oIdx=0 buffer=4 iui=0
_ds_load_b32 v[vgprValuB_X4_I0+0], v[vgprLocalReadAddrB] offset:2048 // L -> Reg lro=512 swapByteOffset=0 ti=32 vIdx=0 rIdx=0 oIdx=0 buffer=4 iui=0
v_mfma_f32_16x16x4_f32 v[8+0:11+0], v[vgprValuB_X1_I0+1+0+0], v[vgprValuA_X1_I0+0+0+0], v[8:11]
/* numPrefetchIter=0 */
/* dataAtIterA=0 numReadsIterA=2 skipReadsIterA=1 readsPerIterA=2 */
/* dataAtIterB=0 numReadsIterB=2 skipReadsIterB=1 readsPerIterB=2 */


/* iter 2 */

/*  grEndMfmaIndex:4, lwStartMfmaIndex:33, lwEndMfmaIndex:58  */
/*  numMfmaForLR:3, barrierMfmaIndex:60, LocalWritePerMfma:0.375 */
/*  mfmaIndex:8  */
/* localReadsVacancy: latencyLeft 5 */
_ds_load_b32 v[vgprValuA_X4_I0+1], v[vgprLocalReadAddrA] offset:8196 // L -> Reg lro=2048 swapByteOffset=0 ti=128 vIdx=0 rIdx=0 oIdx=0 buffer=4 iui=0
_ds_load_b32 v[vgprValuB_X4_I0+1], v[vgprLocalReadAddrB] offset:2052 // L -> Reg lro=512 swapByteOffset=0 ti=32 vIdx=0 rIdx=0 oIdx=0 buffer=4 iui=0
s_waitcnt lgkmcnt(8)                               // lgkmcnt=0 vmcnt=-1wait for prior local read local write old=4, new=4 newLW=0 newLR=0
v_mfma_f32_16x16x4_f32 v[0+0:3+0], v[vgprValuB_X2_I0+0+0+0], v[vgprValuA_X2_I0+0+0+0], v[0:3]
/*  mfmaIndex:9  */
/* localReadsVacancy: latencyLeft 5 */
_ds_load_b32 v[vgprValuA_X5_I0+0], v[vgprLocalReadAddrA] offset:10240 // L -> Reg lro=2560 swapByteOffset=0 ti=128 vIdx=0 rIdx=0 oIdx=0 buffer=5 iui=0
_ds_load_b32 v[vgprValuB_X5_I0+0], v[vgprLocalReadAddrB] offset:2560 // L -> Reg lro=640 swapByteOffset=0 ti=32 vIdx=0 rIdx=0 oIdx=0 buffer=5 iui=0
v_mfma_f32_16x16x4_f32 v[4+0:7+0], v[vgprValuB_X2_I0+0+0+0], v[vgprValuA_X2_I0+1+0+0], v[4:7]
/*  mfmaIndex:10  */
/* localReadsVacancy: latencyLeft 5 */
_ds_load_b32 v[vgprValuA_X5_I0+1], v[vgprLocalReadAddrA] offset:10244 // L -> Reg lro=2560 swapByteOffset=0 ti=128 vIdx=0 rIdx=0 oIdx=0 buffer=5 iui=0
_ds_load_b32 v[vgprValuB_X5_I0+1], v[vgprLocalReadAddrB] offset:2564 // L -> Reg lro=640 swapByteOffset=0 ti=32 vIdx=0 rIdx=0 oIdx=0 buffer=5 iui=0
v_mfma_f32_16x16x4_f32 v[12+0:15+0], v[vgprValuB_X2_I0+1+0+0], v[vgprValuA_X2_I0+1+0+0], v[12:15]
/*  mfmaIndex:11  */
/* localReadsVacancy: latencyLeft 5 */
_ds_load_b32 v[vgprValuA_X6_I0+0], v[vgprLocalReadAddrA] offset:12288 // L -> Reg lro=3072 swapByteOffset=0 ti=128 vIdx=0 rIdx=0 oIdx=0 buffer=6 iui=0
_ds_load_b32 v[vgprValuB_X6_I0+0], v[vgprLocalReadAddrB] offset:3072 // L -> Reg lro=768 swapByteOffset=0 ti=32 vIdx=0 rIdx=0 oIdx=0 buffer=6 iui=0
v_mfma_f32_16x16x4_f32 v[8+0:11+0], v[vgprValuB_X2_I0+1+0+0], v[vgprValuA_X2_I0+0+0+0], v[8:11]
/* numPrefetchIter=0 */
/* dataAtIterA=1 numReadsIterA=3 skipReadsIterA=1 readsPerIterA=2 */
/* dataAtIterB=1 numReadsIterB=3 skipReadsIterB=1 readsPerIterB=2 */


/* iter 3 */

/*  grEndMfmaIndex:4, lwStartMfmaIndex:33, lwEndMfmaIndex:58  */
/*  numMfmaForLR:3, barrierMfmaIndex:60, LocalWritePerMfma:0.375 */
/*  mfmaIndex:12  */
/* localReadsVacancy: latencyLeft 5 */
_ds_load_b32 v[vgprValuA_X6_I0+1], v[vgprLocalReadAddrA] offset:12292 // L -> Reg lro=3072 swapByteOffset=0 ti=128 vIdx=0 rIdx=0 oIdx=0 buffer=6 iui=0
_ds_load_b32 v[vgprValuB_X6_I0+1], v[vgprLocalReadAddrB] offset:3076 // L -> Reg lro=768 swapByteOffset=0 ti=32 vIdx=0 rIdx=0 oIdx=0 buffer=6 iui=0
s_waitcnt lgkmcnt(10)                              // lgkmcnt=0 vmcnt=-1wait for prior local read local write old=2, new=2 newLW=0 newLR=0
v_mfma_f32_16x16x4_f32 v[0+0:3+0], v[vgprValuB_X3_I0+0+0+0], v[vgprValuA_X3_I0+0+0+0], v[0:3]
/*  mfmaIndex:13  */
/* localReadsVacancy: latencyLeft 5 */
_ds_load_b32 v[vgprValuA_X7_I0+0], v[vgprLocalReadAddrA] offset:14336 // L -> Reg lro=3584 swapByteOffset=0 ti=128 vIdx=0 rIdx=0 oIdx=0 buffer=7 iui=0
_ds_load_b32 v[vgprValuB_X7_I0+0], v[vgprLocalReadAddrB] offset:3584 // L -> Reg lro=896 swapByteOffset=0 ti=32 vIdx=0 rIdx=0 oIdx=0 buffer=7 iui=0
v_mfma_f32_16x16x4_f32 v[4+0:7+0], v[vgprValuB_X3_I0+0+0+0], v[vgprValuA_X3_I0+1+0+0], v[4:7]
/*  mfmaIndex:14  */
/* localReadsVacancy: latencyLeft 5 */
_ds_load_b32 v[vgprValuA_X7_I0+1], v[vgprLocalReadAddrA] offset:14340 // L -> Reg lro=3584 swapByteOffset=0 ti=128 vIdx=0 rIdx=0 oIdx=0 buffer=7 iui=0
_ds_load_b32 v[vgprValuB_X7_I0+1], v[vgprLocalReadAddrB] offset:3588 // L -> Reg lro=896 swapByteOffset=0 ti=32 vIdx=0 rIdx=0 oIdx=0 buffer=7 iui=0
v_mfma_f32_16x16x4_f32 v[12+0:15+0], v[vgprValuB_X3_I0+1+0+0], v[vgprValuA_X3_I0+1+0+0], v[12:15]
/*  mfmaIndex:15  */
/* localReadsVacancy: latencyLeft 5 */
_ds_load_b32 v[vgprValuA_X8_I0+0], v[vgprLocalReadAddrA] offset:16384 // L -> Reg lro=4096 swapByteOffset=0 ti=128 vIdx=0 rIdx=0 oIdx=0 buffer=8 iui=0
_ds_load_b32 v[vgprValuB_X8_I0+0], v[vgprLocalReadAddrB] offset:4096 // L -> Reg lro=1024 swapByteOffset=0 ti=32 vIdx=0 rIdx=0 oIdx=0 buffer=8 iui=0
v_mfma_f32_16x16x4_f32 v[8+0:11+0], v[vgprValuB_X3_I0+1+0+0], v[vgprValuA_X3_I0+0+0+0], v[8:11]
/* numPrefetchIter=0 */
/* dataAtIterA=2 numReadsIterA=4 skipReadsIterA=1 readsPerIterA=2 */
/* dataAtIterB=2 numReadsIterB=4 skipReadsIterB=1 readsPerIterB=2 */


/* iter 4 */

/*  grEndMfmaIndex:4, lwStartMfmaIndex:33, lwEndMfmaIndex:58  */
/*  numMfmaForLR:3, barrierMfmaIndex:60, LocalWritePerMfma:0.375 */
/*  mfmaIndex:16  */
/* localReadsVacancy: latencyLeft 5 */
_ds_load_b32 v[vgprValuA_X8_I0+1], v[vgprLocalReadAddrA] offset:16388 // L -> Reg lro=4096 swapByteOffset=0 ti=128 vIdx=0 rIdx=0 oIdx=0 buffer=8 iui=0
_ds_load_b32 v[vgprValuB_X8_I0+1], v[vgprLocalReadAddrB] offset:4100 // L -> Reg lro=1024 swapByteOffset=0 ti=32 vIdx=0 rIdx=0 oIdx=0 buffer=8 iui=0
s_waitcnt lgkmcnt(15)                              // lgkmcnt=0 vmcnt=-1wait for prior local read local write old=4, new=4 newLW=0 newLR=0
v_mfma_f32_16x16x4_f32 v[0+0:3+0], v[vgprValuB_X4_I0+0+0+0], v[vgprValuA_X4_I0+0+0+0], v[0:3]
/*  mfmaIndex:17  */
/* localReadsVacancy: latencyLeft 5 */
_ds_load_b32 v[vgprValuA_X9_I0+0], v[vgprLocalReadAddrA] offset:18432 // L -> Reg lro=4608 swapByteOffset=0 ti=128 vIdx=0 rIdx=0 oIdx=0 buffer=9 iui=0
_ds_load_b32 v[vgprValuB_X9_I0+0], v[vgprLocalReadAddrB] offset:4608 // L -> Reg lro=1152 swapByteOffset=0 ti=32 vIdx=0 rIdx=0 oIdx=0 buffer=9 iui=0
v_mfma_f32_16x16x4_f32 v[4+0:7+0], v[vgprValuB_X4_I0+0+0+0], v[vgprValuA_X4_I0+1+0+0], v[4:7]
/*  mfmaIndex:18  */
/* localReadsVacancy: latencyLeft 5 */
_ds_load_b32 v[vgprValuA_X9_I0+1], v[vgprLocalReadAddrA] offset:18436 // L -> Reg lro=4608 swapByteOffset=0 ti=128 vIdx=0 rIdx=0 oIdx=0 buffer=9 iui=0
_ds_load_b32 v[vgprValuB_X9_I0+1], v[vgprLocalReadAddrB] offset:4612 // L -> Reg lro=1152 swapByteOffset=0 ti=32 vIdx=0 rIdx=0 oIdx=0 buffer=9 iui=0
v_mfma_f32_16x16x4_f32 v[12+0:15+0], v[vgprValuB_X4_I0+1+0+0], v[vgprValuA_X4_I0+1+0+0], v[12:15]
/*  mfmaIndex:19  */
/* localReadsVacancy: latencyLeft 5 */
_ds_load_b32 v[vgprValuA_X10_I0+0], v[vgprLocalReadAddrA] offset:20480 // L -> Reg lro=5120 swapByteOffset=0 ti=128 vIdx=0 rIdx=0 oIdx=0 buffer=10 iui=0
_ds_load_b32 v[vgprValuB_X10_I0+0], v[vgprLocalReadAddrB] offset:5120 // L -> Reg lro=1280 swapByteOffset=0 ti=32 vIdx=0 rIdx=0 oIdx=0 buffer=10 iui=0
v_mfma_f32_16x16x4_f32 v[8+0:11+0], v[vgprValuB_X4_I0+1+0+0], v[vgprValuA_X4_I0+0+0+0], v[8:11]
/* numPrefetchIter=0 */
/* dataAtIterA=3 numReadsIterA=5 skipReadsIterA=1 readsPerIterA=2 */
/* dataAtIterB=3 numReadsIterB=5 skipReadsIterB=1 readsPerIterB=2 */


/* iter 5 */

/*  grEndMfmaIndex:4, lwStartMfmaIndex:33, lwEndMfmaIndex:58  */
/*  numMfmaForLR:3, barrierMfmaIndex:60, LocalWritePerMfma:0.375 */
/*  mfmaIndex:20  */
/* localReadsVacancy: latencyLeft 5 */
_ds_load_b32 v[vgprValuA_X10_I0+1], v[vgprLocalReadAddrA] offset:20484 // L -> Reg lro=5120 swapByteOffset=0 ti=128 vIdx=0 rIdx=0 oIdx=0 buffer=10 iui=0
_ds_load_b32 v[vgprValuB_X10_I0+1], v[vgprLocalReadAddrB] offset:5124 // L -> Reg lro=1280 swapByteOffset=0 ti=32 vIdx=0 rIdx=0 oIdx=0 buffer=10 iui=0
s_waitcnt lgkmcnt(15)                              // lgkmcnt=0 vmcnt=-1wait for prior local read local write old=4, new=4 newLW=0 newLR=0
v_mfma_f32_16x16x4_f32 v[0+0:3+0], v[vgprValuB_X5_I0+0+0+0], v[vgprValuA_X5_I0+0+0+0], v[0:3]
/*  mfmaIndex:21  */
/* localReadsVacancy: latencyLeft 5 */
_ds_load_b32 v[vgprValuA_X11_I0+0], v[vgprLocalReadAddrA] offset:22528 // L -> Reg lro=5632 swapByteOffset=0 ti=128 vIdx=0 rIdx=0 oIdx=0 buffer=11 iui=0
_ds_load_b32 v[vgprValuB_X11_I0+0], v[vgprLocalReadAddrB] offset:5632 // L -> Reg lro=1408 swapByteOffset=0 ti=32 vIdx=0 rIdx=0 oIdx=0 buffer=11 iui=0
v_mfma_f32_16x16x4_f32 v[4+0:7+0], v[vgprValuB_X5_I0+0+0+0], v[vgprValuA_X5_I0+1+0+0], v[4:7]
/*  mfmaIndex:22  */
/* localReadsVacancy: latencyLeft 5 */
_ds_load_b32 v[vgprValuA_X11_I0+1], v[vgprLocalReadAddrA] offset:22532 // L -> Reg lro=5632 swapByteOffset=0 ti=128 vIdx=0 rIdx=0 oIdx=0 buffer=11 iui=0
_ds_load_b32 v[vgprValuB_X11_I0+1], v[vgprLocalReadAddrB] offset:5636 // L -> Reg lro=1408 swapByteOffset=0 ti=32 vIdx=0 rIdx=0 oIdx=0 buffer=11 iui=0
v_mfma_f32_16x16x4_f32 v[12+0:15+0], v[vgprValuB_X5_I0+1+0+0], v[vgprValuA_X5_I0+1+0+0], v[12:15]
/*  mfmaIndex:23  */
/* localReadsVacancy: latencyLeft 5 */
_ds_load_b32 v[vgprValuA_X12_I0+0], v[vgprLocalReadAddrA] offset:24576 // L -> Reg lro=6144 swapByteOffset=0 ti=128 vIdx=0 rIdx=0 oIdx=0 buffer=12 iui=0
_ds_load_b32 v[vgprValuB_X12_I0+0], v[vgprLocalReadAddrB] offset:6144 // L -> Reg lro=1536 swapByteOffset=0 ti=32 vIdx=0 rIdx=0 oIdx=0 buffer=12 iui=0
v_mfma_f32_16x16x4_f32 v[8+0:11+0], v[vgprValuB_X5_I0+1+0+0], v[vgprValuA_X5_I0+0+0+0], v[8:11]
/* numPrefetchIter=0 */
/* dataAtIterA=4 numReadsIterA=6 skipReadsIterA=1 readsPerIterA=2 */
/* dataAtIterB=4 numReadsIterB=6 skipReadsIterB=1 readsPerIterB=2 */


/* iter 6 */

/*  grEndMfmaIndex:4, lwStartMfmaIndex:33, lwEndMfmaIndex:58  */
/*  numMfmaForLR:3, barrierMfmaIndex:60, LocalWritePerMfma:0.375 */
/*  mfmaIndex:24  */
/* localReadsVacancy: latencyLeft 5 */
_ds_load_b32 v[vgprValuA_X12_I0+1], v[vgprLocalReadAddrA] offset:24580 // L -> Reg lro=6144 swapByteOffset=0 ti=128 vIdx=0 rIdx=0 oIdx=0 buffer=12 iui=0
_ds_load_b32 v[vgprValuB_X12_I0+1], v[vgprLocalReadAddrB] offset:6148 // L -> Reg lro=1536 swapByteOffset=0 ti=32 vIdx=0 rIdx=0 oIdx=0 buffer=12 iui=0
s_waitcnt lgkmcnt(15)                              // lgkmcnt=0 vmcnt=-1wait for prior local read local write old=4, new=4 newLW=0 newLR=0
v_mfma_f32_16x16x4_f32 v[0+0:3+0], v[vgprValuB_X6_I0+0+0+0], v[vgprValuA_X6_I0+0+0+0], v[0:3]
/*  mfmaIndex:25  */
/* localReadsVacancy: latencyLeft 5 */
_ds_load_b32 v[vgprValuA_X13_I0+0], v[vgprLocalReadAddrA] offset:26624 // L -> Reg lro=6656 swapByteOffset=0 ti=128 vIdx=0 rIdx=0 oIdx=0 buffer=13 iui=0
_ds_load_b32 v[vgprValuB_X13_I0+0], v[vgprLocalReadAddrB] offset:6656 // L -> Reg lro=1664 swapByteOffset=0 ti=32 vIdx=0 rIdx=0 oIdx=0 buffer=13 iui=0
v_mfma_f32_16x16x4_f32 v[4+0:7+0], v[vgprValuB_X6_I0+0+0+0], v[vgprValuA_X6_I0+1+0+0], v[4:7]
/*  mfmaIndex:26  */
/* localReadsVacancy: latencyLeft 5 */
_ds_load_b32 v[vgprValuA_X13_I0+1], v[vgprLocalReadAddrA] offset:26628 // L -> Reg lro=6656 swapByteOffset=0 ti=128 vIdx=0 rIdx=0 oIdx=0 buffer=13 iui=0
_ds_load_b32 v[vgprValuB_X13_I0+1], v[vgprLocalReadAddrB] offset:6660 // L -> Reg lro=1664 swapByteOffset=0 ti=32 vIdx=0 rIdx=0 oIdx=0 buffer=13 iui=0
v_mfma_f32_16x16x4_f32 v[12+0:15+0], v[vgprValuB_X6_I0+1+0+0], v[vgprValuA_X6_I0+1+0+0], v[12:15]
/*  mfmaIndex:27  */
/* localReadsVacancy: latencyLeft 5 */
_ds_load_b32 v[vgprValuA_X14_I0+0], v[vgprLocalReadAddrA] offset:28672 // L -> Reg lro=7168 swapByteOffset=0 ti=128 vIdx=0 rIdx=0 oIdx=0 buffer=14 iui=0
_ds_load_b32 v[vgprValuB_X14_I0+0], v[vgprLocalReadAddrB] offset:7168 // L -> Reg lro=1792 swapByteOffset=0 ti=32 vIdx=0 rIdx=0 oIdx=0 buffer=14 iui=0
v_mfma_f32_16x16x4_f32 v[8+0:11+0], v[vgprValuB_X6_I0+1+0+0], v[vgprValuA_X6_I0+0+0+0], v[8:11]
/* numPrefetchIter=0 */
/* dataAtIterA=5 numReadsIterA=7 skipReadsIterA=1 readsPerIterA=2 */
/* dataAtIterB=5 numReadsIterB=7 skipReadsIterB=1 readsPerIterB=2 */


/* iter 7 */

/*  grEndMfmaIndex:4, lwStartMfmaIndex:33, lwEndMfmaIndex:58  */
/*  numMfmaForLR:3, barrierMfmaIndex:60, LocalWritePerMfma:0.375 */
/*  mfmaIndex:28  */
/* localReadsVacancy: latencyLeft 5 */
_ds_load_b32 v[vgprValuA_X14_I0+1], v[vgprLocalReadAddrA] offset:28676 // L -> Reg lro=7168 swapByteOffset=0 ti=128 vIdx=0 rIdx=0 oIdx=0 buffer=14 iui=0
_ds_load_b32 v[vgprValuB_X14_I0+1], v[vgprLocalReadAddrB] offset:7172 // L -> Reg lro=1792 swapByteOffset=0 ti=32 vIdx=0 rIdx=0 oIdx=0 buffer=14 iui=0
s_waitcnt lgkmcnt(15)                              // lgkmcnt=0 vmcnt=-1wait for prior local read local write old=4, new=4 newLW=0 newLR=0
v_mfma_f32_16x16x4_f32 v[0+0:3+0], v[vgprValuB_X7_I0+0+0+0], v[vgprValuA_X7_I0+0+0+0], v[0:3]
/*  mfmaIndex:29  */
/* localReadsVacancy: latencyLeft 5 */
_ds_load_b32 v[vgprValuA_X15_I0+0], v[vgprLocalReadAddrA] offset:30720 // L -> Reg lro=7680 swapByteOffset=0 ti=128 vIdx=0 rIdx=0 oIdx=0 buffer=15 iui=0
_ds_load_b32 v[vgprValuB_X15_I0+0], v[vgprLocalReadAddrB] offset:7680 // L -> Reg lro=1920 swapByteOffset=0 ti=32 vIdx=0 rIdx=0 oIdx=0 buffer=15 iui=0
v_mfma_f32_16x16x4_f32 v[4+0:7+0], v[vgprValuB_X7_I0+0+0+0], v[vgprValuA_X7_I0+1+0+0], v[4:7]
/*  mfmaIndex:30  */
/* localReadsVacancy: latencyLeft 5 */
_ds_load_b32 v[vgprValuA_X15_I0+1], v[vgprLocalReadAddrA] offset:30724 // L -> Reg lro=7680 swapByteOffset=0 ti=128 vIdx=0 rIdx=0 oIdx=0 buffer=15 iui=0
_ds_load_b32 v[vgprValuB_X15_I0+1], v[vgprLocalReadAddrB] offset:7684 // L -> Reg lro=1920 swapByteOffset=0 ti=32 vIdx=0 rIdx=0 oIdx=0 buffer=15 iui=0
v_mfma_f32_16x16x4_f32 v[12+0:15+0], v[vgprValuB_X7_I0+1+0+0], v[vgprValuA_X7_I0+1+0+0], v[12:15]
/*  mfmaIndex:31  */
/* localReadsVacancy: latencyLeft 5 */
v_mfma_f32_16x16x4_f32 v[8+0:11+0], v[vgprValuB_X7_I0+1+0+0], v[vgprValuA_X7_I0+0+0+0], v[8:11]
/* numPrefetchIter=0 */
/* dataAtIterA=6 numReadsIterA=8 skipReadsIterA=1 readsPerIterA=2 */
/* dataAtIterB=6 numReadsIterB=8 skipReadsIterB=1 readsPerIterB=2 */


/* iter 8 */

/*  grEndMfmaIndex:4, lwStartMfmaIndex:33, lwEndMfmaIndex:58  */
/*  numMfmaForLR:3, barrierMfmaIndex:60, LocalWritePerMfma:0.375 */
/*  mfmaIndex:32  */
/* localReadsVacancy: latencyLeft 5 */
/* 1 LDS buffer: read-sync-write */
s_waitcnt lgkmcnt(0)                               // 
s_barrier                                          // 
s_waitcnt lgkmcnt(15)                              // lgkmcnt=0 vmcnt=-1wait for prior local read local write old=4, new=4 newLW=0 newLR=0
v_mfma_f32_16x16x4_f32 v[0+0:3+0], v[vgprValuB_X8_I0+0+0+0], v[vgprValuA_X8_I0+0+0+0], v[0:3]
/*  mfmaIndex:33  */
s_setprio 3                                        // store optimization
/* sched write - iter 8 writesPerItem=1 */
s_waitcnt vmcnt(0)                                 // lgkmcnt=-1 vmcnt=0wait for global read before writing to local
_ds_store_b128 v[vgprLocalWriteAddrA], v[vgprG2LA+0:vgprG2LA+0+3] offset:0 // lwoA_0_0_0_0 = (0*LSCA) + (0*LSPA)(*MT0I+PAD) = 0
v_mfma_f32_16x16x4_f32 v[4+0:7+0], v[vgprValuB_X8_I0+0+0+0], v[vgprValuA_X8_I0+1+0+0], v[4:7]
/*  mfmaIndex:34  */
_buffer_load_b128 v[vgprG2LA+0:vgprG2LA+0+3], v[vgprGlobalReadOffsetA+0], s[sgprSrdA:sgprSrdA+3], 0, offen offset:0 // G -> Reg 0_0_0_0
v_mfma_f32_16x16x4_f32 v[12+0:15+0], v[vgprValuB_X8_I0+1+0+0], v[vgprValuA_X8_I0+1+0+0], v[12:15]
/*  mfmaIndex:35  */
/* sched write - iter 8 writesPerItem=1 */
s_waitcnt vmcnt(0)                                 // lgkmcnt=-1 vmcnt=0wait for global read before writing to local
_ds_store_b128 v[vgprLocalWriteAddrA], v[vgprG2LA+4:vgprG2LA+4+3] offset:4096 // lwoA_0_0_1_0 = (0*LSCA) + (1*LSPA)(*MT0I+PAD) = 4096
v_mfma_f32_16x16x4_f32 v[8+0:11+0], v[vgprValuB_X8_I0+1+0+0], v[vgprValuA_X8_I0+0+0+0], v[8:11]
/* numPrefetchIter=0 */
/* dataAtIterA=7 numReadsIterA=9 skipReadsIterA=1 readsPerIterA=2 */
/* dataAtIterB=7 numReadsIterB=9 skipReadsIterB=1 readsPerIterB=2 */


/* iter 9 */

/*  grEndMfmaIndex:4, lwStartMfmaIndex:33, lwEndMfmaIndex:58  */
/*  numMfmaForLR:3, barrierMfmaIndex:60, LocalWritePerMfma:0.375 */
/*  mfmaIndex:36  */
_buffer_load_b128 v[vgprG2LA+4:vgprG2LA+4+3], v[vgprGlobalReadOffsetA+1], s[sgprSrdA:sgprSrdA+3], 0, offen offset:0 // G -> Reg 0_0_1_0
v_mfma_f32_16x16x4_f32 v[0+0:3+0], v[vgprValuB_X9_I0+0+0+0], v[vgprValuA_X9_I0+0+0+0], v[0:3]
/*  mfmaIndex:37  */
v_mfma_f32_16x16x4_f32 v[4+0:7+0], v[vgprValuB_X9_I0+0+0+0], v[vgprValuA_X9_I0+1+0+0], v[4:7]
/*  mfmaIndex:38  */
/* sched write - iter 9 writesPerItem=1 */
s_waitcnt vmcnt(0)                                 // lgkmcnt=-1 vmcnt=0wait for global read before writing to local
_ds_store_b128 v[vgprLocalWriteAddrA], v[vgprG2LA+8:vgprG2LA+8+3] offset:8192 // lwoA_0_0_2_0 = (0*LSCA) + (2*LSPA)(*MT0I+PAD) = 8192
v_mfma_f32_16x16x4_f32 v[12+0:15+0], v[vgprValuB_X9_I0+1+0+0], v[vgprValuA_X9_I0+1+0+0], v[12:15]
/*  mfmaIndex:39  */
_buffer_load_b128 v[vgprG2LA+8:vgprG2LA+8+3], v[vgprGlobalReadOffsetA+2], s[sgprSrdA:sgprSrdA+3], 0, offen offset:0 // G -> Reg 0_0_2_0
v_mfma_f32_16x16x4_f32 v[8+0:11+0], v[vgprValuB_X9_I0+1+0+0], v[vgprValuA_X9_I0+0+0+0], v[8:11]


/* iter 10 */

/*  grEndMfmaIndex:4, lwStartMfmaIndex:33, lwEndMfmaIndex:58  */
/*  numMfmaForLR:3, barrierMfmaIndex:60, LocalWritePerMfma:0.375 */
/*  mfmaIndex:40  */
v_mfma_f32_16x16x4_f32 v[0+0:3+0], v[vgprValuB_X10_I0+0+0+0], v[vgprValuA_X10_I0+0+0+0], v[0:3]
/*  mfmaIndex:41  */
/* sched write - iter 10 writesPerItem=1 */
s_waitcnt vmcnt(0)                                 // lgkmcnt=-1 vmcnt=0wait for global read before writing to local
_ds_store_b128 v[vgprLocalWriteAddrA], v[vgprG2LA+12:vgprG2LA+12+3] offset:12288 // lwoA_0_0_3_0 = (0*LSCA) + (3*LSPA)(*MT0I+PAD) = 12288
v_mfma_f32_16x16x4_f32 v[4+0:7+0], v[vgprValuB_X10_I0+0+0+0], v[vgprValuA_X10_I0+1+0+0], v[4:7]
/*  mfmaIndex:42  */
_buffer_load_b128 v[vgprG2LA+12:vgprG2LA+12+3], v[vgprGlobalReadOffsetA+3], s[sgprSrdA:sgprSrdA+3], 0, offen offset:0 // G -> Reg 0_0_3_0
v_mfma_f32_16x16x4_f32 v[12+0:15+0], v[vgprValuB_X10_I0+1+0+0], v[vgprValuA_X10_I0+1+0+0], v[12:15]
/*  mfmaIndex:43  */
/* sched write - iter 10 writesPerItem=1 */
s_waitcnt vmcnt(0)                                 // lgkmcnt=-1 vmcnt=0wait for global read before writing to local
_ds_store_b128 v[vgprLocalWriteAddrA], v[vgprG2LA+16:vgprG2LA+16+3] offset:16384 // lwoA_0_0_4_0 = (0*LSCA) + (4*LSPA)(*MT0I+PAD) = 16384
v_mfma_f32_16x16x4_f32 v[8+0:11+0], v[vgprValuB_X10_I0+1+0+0], v[vgprValuA_X10_I0+0+0+0], v[8:11]


/* iter 11 */

/*  grEndMfmaIndex:4, lwStartMfmaIndex:33, lwEndMfmaIndex:58  */
/*  numMfmaForLR:3, barrierMfmaIndex:60, LocalWritePerMfma:0.375 */
/*  mfmaIndex:44  */
_buffer_load_b128 v[vgprG2LA+16:vgprG2LA+16+3], v[vgprGlobalReadOffsetA+4], s[sgprSrdA:sgprSrdA+3], 0, offen offset:0 // G -> Reg 0_0_4_0
v_mfma_f32_16x16x4_f32 v[0+0:3+0], v[vgprValuB_X11_I0+0+0+0], v[vgprValuA_X11_I0+0+0+0], v[0:3]
/*  mfmaIndex:45  */
v_mfma_f32_16x16x4_f32 v[4+0:7+0], v[vgprValuB_X11_I0+0+0+0], v[vgprValuA_X11_I0+1+0+0], v[4:7]
/*  mfmaIndex:46  */
/* sched write - iter 11 writesPerItem=1 */
s_waitcnt vmcnt(0)                                 // lgkmcnt=-1 vmcnt=0wait for global read before writing to local
_ds_store_b128 v[vgprLocalWriteAddrA], v[vgprG2LA+20:vgprG2LA+20+3] offset:20480 // lwoA_0_0_5_0 = (0*LSCA) + (5*LSPA)(*MT0I+PAD) = 20480
v_mfma_f32_16x16x4_f32 v[12+0:15+0], v[vgprValuB_X11_I0+1+0+0], v[vgprValuA_X11_I0+1+0+0], v[12:15]
/*  mfmaIndex:47  */
_buffer_load_b128 v[vgprG2LA+20:vgprG2LA+20+3], v[vgprGlobalReadOffsetA+5], s[sgprSrdA:sgprSrdA+3], 0, offen offset:0 // G -> Reg 0_0_5_0
v_mfma_f32_16x16x4_f32 v[8+0:11+0], v[vgprValuB_X11_I0+1+0+0], v[vgprValuA_X11_I0+0+0+0], v[8:11]


/* iter 12 */

/*  grEndMfmaIndex:4, lwStartMfmaIndex:33, lwEndMfmaIndex:58  */
/*  numMfmaForLR:3, barrierMfmaIndex:60, LocalWritePerMfma:0.375 */
/*  mfmaIndex:48  */
v_mfma_f32_16x16x4_f32 v[0+0:3+0], v[vgprValuB_X12_I0+0+0+0], v[vgprValuA_X12_I0+0+0+0], v[0:3]
/*  mfmaIndex:49  */
/* sched write - iter 12 writesPerItem=1 */
s_waitcnt vmcnt(0)                                 // lgkmcnt=-1 vmcnt=0wait for global read before writing to local
_ds_store_b128 v[vgprLocalWriteAddrA], v[vgprG2LA+24:vgprG2LA+24+3] offset:24576 // lwoA_0_0_6_0 = (0*LSCA) + (6*LSPA)(*MT0I+PAD) = 24576
v_mfma_f32_16x16x4_f32 v[4+0:7+0], v[vgprValuB_X12_I0+0+0+0], v[vgprValuA_X12_I0+1+0+0], v[4:7]
/*  mfmaIndex:50  */
_buffer_load_b128 v[vgprG2LA+24:vgprG2LA+24+3], v[vgprGlobalReadOffsetA+6], s[sgprSrdA:sgprSrdA+3], 0, offen offset:0 // G -> Reg 0_0_6_0
v_mfma_f32_16x16x4_f32 v[12+0:15+0], v[vgprValuB_X12_I0+1+0+0], v[vgprValuA_X12_I0+1+0+0], v[12:15]
/*  mfmaIndex:51  */
/* sched write - iter 12 writesPerItem=1 */
s_waitcnt vmcnt(0)                                 // lgkmcnt=-1 vmcnt=0wait for global read before writing to local
_ds_store_b128 v[vgprLocalWriteAddrA], v[vgprG2LA+28:vgprG2LA+28+3] offset:28672 // lwoA_0_0_7_0 = (0*LSCA) + (7*LSPA)(*MT0I+PAD) = 28672
v_mfma_f32_16x16x4_f32 v[8+0:11+0], v[vgprValuB_X12_I0+1+0+0], v[vgprValuA_X12_I0+0+0+0], v[8:11]


/* iter 13 */

/*  grEndMfmaIndex:4, lwStartMfmaIndex:33, lwEndMfmaIndex:58  */
/*  numMfmaForLR:3, barrierMfmaIndex:60, LocalWritePerMfma:0.375 */
/*  mfmaIndex:52  */
_buffer_load_b128 v[vgprG2LA+28:vgprG2LA+28+3], v[vgprGlobalReadOffsetA+7], s[sgprSrdA:sgprSrdA+3], 0, offen offset:0 // G -> Reg 0_0_7_0
v_mfma_f32_16x16x4_f32 v[0+0:3+0], v[vgprValuB_X13_I0+0+0+0], v[vgprValuA_X13_I0+0+0+0], v[0:3]
/*  mfmaIndex:53  */
v_mfma_f32_16x16x4_f32 v[4+0:7+0], v[vgprValuB_X13_I0+0+0+0], v[vgprValuA_X13_I0+1+0+0], v[4:7]
/*  mfmaIndex:54  */
/* sched write - iter 13 writesPerItem=1 */
s_waitcnt vmcnt(0)                                 // lgkmcnt=-1 vmcnt=0wait for global read before writing to local
_ds_store_b128 v[vgprLocalWriteAddrB], v[vgprG2LB+0:vgprG2LB+0+3] offset:0 // lwoB_0_0_0_0 = (0*LSCB) + (0*LSPB)(*MT1J+PAD) = 0
v_mfma_f32_16x16x4_f32 v[12+0:15+0], v[vgprValuB_X13_I0+1+0+0], v[vgprValuA_X13_I0+1+0+0], v[12:15]
/*  mfmaIndex:55  */
_buffer_load_b128 v[vgprG2LB+0:vgprG2LB+0+3], v[vgprGlobalReadOffsetB+0], s[sgprSrdB:sgprSrdB+3], 0, offen offset:0 // G -> Reg 0_0_0_0
v_mfma_f32_16x16x4_f32 v[8+0:11+0], v[vgprValuB_X13_I0+1+0+0], v[vgprValuA_X13_I0+0+0+0], v[8:11]


/* iter 14 (reset local read pointers iteration)  (swap and reset local write pointers iteration)  (swap local read pointers iteration)  */

/*  grEndMfmaIndex:4, lwStartMfmaIndex:33, lwEndMfmaIndex:58  */
/*  numMfmaForLR:3, barrierMfmaIndex:60, LocalWritePerMfma:0.375 */
/*  mfmaIndex:56  */
v_mfma_f32_16x16x4_f32 v[0+0:3+0], v[vgprValuB_X14_I0+0+0+0], v[vgprValuA_X14_I0+0+0+0], v[0:3]
/*  mfmaIndex:57  */
/* sched write - iter 14 writesPerItem=1 */
s_waitcnt vmcnt(0)                                 // lgkmcnt=-1 vmcnt=0wait for global read before writing to local
_ds_store_b128 v[vgprLocalWriteAddrB], v[vgprG2LB+4:vgprG2LB+4+3] offset:4096 // lwoB_0_0_1_0 = (0*LSCB) + (1*LSPB)(*MT1J+PAD) = 4096
v_mfma_f32_16x16x4_f32 v[4+0:7+0], v[vgprValuB_X14_I0+0+0+0], v[vgprValuA_X14_I0+1+0+0], v[4:7]
/*  mfmaIndex:58  */
_buffer_load_b128 v[vgprG2LB+4:vgprG2LB+4+3], v[vgprGlobalReadOffsetB+1], s[sgprSrdB:sgprSrdB+3], 0, offen offset:0 // G -> Reg 0_0_1_0

/* local write swap offsets a */

/* local write swap offsets b */
v_mfma_f32_16x16x4_f32 v[12+0:15+0], v[vgprValuB_X14_I0+1+0+0], v[vgprValuA_X14_I0+1+0+0], v[12:15]
/*  mfmaIndex:59  */

/* local read swap offsets a */

/* local read swap offsets b */

/* local read init pointers a */

/* localReadInitPointers */

/* local read init pointers b */

/* localReadInitPointers */
v_mfma_f32_16x16x4_f32 v[8+0:11+0], v[vgprValuB_X14_I0+1+0+0], v[vgprValuA_X14_I0+0+0+0], v[8:11]
s_setprio 0                                        // store optimization


/* iter 15 */

/*  grEndMfmaIndex:4, lwStartMfmaIndex:33, lwEndMfmaIndex:58  */
/*  numMfmaForLR:3, barrierMfmaIndex:60, LocalWritePerMfma:0.375 */
/*  mfmaIndex:60  */
s_waitcnt lgkmcnt(0)                               // lgkmcnt=0 vmcnt=-13wait for local write
// Skip force waitcnt0
s_barrier //
v_mfma_f32_16x16x4_f32 v[0+0:3+0], v[vgprValuB_X15_I0+0+0+0], v[vgprValuA_X15_I0+0+0+0], v[0:3]
/*  mfmaIndex:61  */
s_setprio 3                                        // store optimization
_ds_load_b32 v[vgprValuA_X0_I0+0], v[vgprLocalReadAddrA] offset:0 // L -> Reg lro=0 swapByteOffset=0 ti=128 vIdx=0 rIdx=0 oIdx=0 buffer=0 iui=0
_ds_load_b32 v[vgprValuB_X0_I0+0], v[vgprLocalReadAddrB] offset:0 // L -> Reg lro=0 swapByteOffset=0 ti=32 vIdx=0 rIdx=0 oIdx=0 buffer=0 iui=0
v_mfma_f32_16x16x4_f32 v[4+0:7+0], v[vgprValuB_X15_I0+0+0+0], v[vgprValuA_X15_I0+1+0+0], v[4:7]
/*  mfmaIndex:62  */
_ds_load_b32 v[vgprValuA_X0_I0+1], v[vgprLocalReadAddrA] offset:4 // L -> Reg lro=0 swapByteOffset=0 ti=128 vIdx=0 rIdx=0 oIdx=0 buffer=0 iui=0
_ds_load_b32 v[vgprValuB_X0_I0+1], v[vgprLocalReadAddrB] offset:4 // L -> Reg lro=0 swapByteOffset=0 ti=32 vIdx=0 rIdx=0 oIdx=0 buffer=0 iui=0
v_mfma_f32_16x16x4_f32 v[12+0:15+0], v[vgprValuB_X15_I0+1+0+0], v[vgprValuA_X15_I0+1+0+0], v[12:15]
/*  mfmaIndex:63  */
v_mfma_f32_16x16x4_f32 v[8+0:11+0], v[vgprValuB_X15_I0+1+0+0], v[vgprValuA_X15_I0+0+0+0], v[8:11]
s_setprio 0                                        // store optimization


/******************************************/
/* Unrolled Loop - End 1/2                */
/******************************************/


/* closeLoop loopL finalLoop=0 tailLoop=0 */
s_sub_u32 s[sgprLoopCounterL], s[sgprLoopCounterL], 1 // dec counterL
s_cmp_eq_i32 s[sgprLoopCounterL], 0x2              // counterL==2
s_cbranch_scc1 LoopEndL_oddexit_3                  // exit LoopL


/******************************************/
/* Unrolled Loop 2/2 - Begin              */
/******************************************/

label_0016: // LoopCopy2 


/* Begin Each Unroll: Check VGPR.checkin for INT8 LW */



/* iter 0 */

/*  grEndMfmaIndex:4, lwStartMfmaIndex:33, lwEndMfmaIndex:58  */
/*  numMfmaForLR:3, barrierMfmaIndex:60, LocalWritePerMfma:0.375 */
/*  mfmaIndex:0  */
s_waitcnt lgkmcnt(0)                               // lgkmcnt=0 vmcnt=-1wait for prior local read local write old=0, new=0 newLW=0 newLR=0
v_mfma_f32_16x16x4_f32 v[0+0:3+0], v[vgprValuB_X0_I0+0+0+0], v[vgprValuA_X0_I0+0+0+0], v[0:3]
/*  mfmaIndex:1  */
_ds_load_b32 v[vgprValuA_X1_I0+0], v[vgprLocalReadAddrA] offset:2048 // L -> Reg lro=512 swapByteOffset=0 ti=128 vIdx=0 rIdx=0 oIdx=0 buffer=1 iui=0
_ds_load_b32 v[vgprValuB_X1_I0+0], v[vgprLocalReadAddrB] offset:512 // L -> Reg lro=128 swapByteOffset=0 ti=32 vIdx=0 rIdx=0 oIdx=0 buffer=1 iui=0

/* global read inc A loopL */
s_add_u32 s[sgprSrdA+0], s[sgprSrdA+0], s[sgprGlobalReadIncsA+0] // gra SRD += inc(lower)
s_addc_u32  s[sgprSrdA+1], s[sgprSrdA+1], 0        // gra SRD += inc(upper)
s_sub_u32 s[sgprShadowLimitA+0], s[sgprShadowLimitA+0], s[sgprGlobalReadIncsA+0] // limit -= inc)
v_mfma_f32_16x16x4_f32 v[4+0:7+0], v[vgprValuB_X0_I0+0+0+0], v[vgprValuA_X0_I0+1+0+0], v[4:7]
/*  mfmaIndex:2  */
_ds_load_b32 v[vgprValuA_X1_I0+1], v[vgprLocalReadAddrA] offset:2052 // L -> Reg lro=512 swapByteOffset=0 ti=128 vIdx=0 rIdx=0 oIdx=0 buffer=1 iui=0
_ds_load_b32 v[vgprValuB_X1_I0+1], v[vgprLocalReadAddrB] offset:516 // L -> Reg lro=128 swapByteOffset=0 ti=32 vIdx=0 rIdx=0 oIdx=0 buffer=1 iui=0
/* localReadsVacancy: latencyLeft 1 */
s_subb_u32 s[sgprShadowLimitA+1], s[sgprShadowLimitA+1], 0 // limit -= inc)
s_cmp_eq_u32 s[sgprShadowLimitA+1], 0              // are we within 2^32?
s_cmov_b32 s[sgprSrdA+2], s[sgprShadowLimitA+0]    // Move shadow to real if we are within 2^32
v_mfma_f32_16x16x4_f32 v[12+0:15+0], v[vgprValuB_X0_I0+1+0+0], v[vgprValuA_X0_I0+1+0+0], v[12:15]
/*  mfmaIndex:3  */
/* localReadsVacancy: latencyLeft 5 */
_ds_load_b32 v[vgprValuA_X2_I0+0], v[vgprLocalReadAddrA] offset:4096 // L -> Reg lro=1024 swapByteOffset=0 ti=128 vIdx=0 rIdx=0 oIdx=0 buffer=2 iui=0
_ds_load_b32 v[vgprValuB_X2_I0+0], v[vgprLocalReadAddrB] offset:1024 // L -> Reg lro=256 swapByteOffset=0 ti=32 vIdx=0 rIdx=0 oIdx=0 buffer=2 iui=0

/* global read inc B loopL */
s_add_u32 s[sgprSrdB+0], s[sgprSrdB+0], s[sgprGlobalReadIncsB+0] // gra SRD += inc(lower)
s_addc_u32  s[sgprSrdB+1], s[sgprSrdB+1], 0        // gra SRD += inc(upper)
s_sub_u32 s[sgprShadowLimitB+0], s[sgprShadowLimitB+0], s[sgprGlobalReadIncsB+0] // limit -= inc)
v_mfma_f32_16x16x4_f32 v[8+0:11+0], v[vgprValuB_X0_I0+1+0+0], v[vgprValuA_X0_I0+0+0+0], v[8:11]
/* numPrefetchIter=0 */
/* dataAtIterA=-1 numReadsIterA=1 skipReadsIterA=1 readsPerIterA=2 */
/* dataAtIterB=-1 numReadsIterB=1 skipReadsIterB=1 readsPerIterB=2 */


/* iter 1 */

/*  grEndMfmaIndex:4, lwStartMfmaIndex:33, lwEndMfmaIndex:58  */
/*  numMfmaForLR:3, barrierMfmaIndex:60, LocalWritePerMfma:0.375 */
/*  mfmaIndex:4  */
_ds_load_b32 v[vgprValuA_X2_I0+1], v[vgprLocalReadAddrA] offset:4100 // L -> Reg lro=1024 swapByteOffset=0 ti=128 vIdx=0 rIdx=0 oIdx=0 buffer=2 iui=0
_ds_load_b32 v[vgprValuB_X2_I0+1], v[vgprLocalReadAddrB] offset:1028 // L -> Reg lro=256 swapByteOffset=0 ti=32 vIdx=0 rIdx=0 oIdx=0 buffer=2 iui=0
/* localReadsVacancy: latencyLeft 1 */
s_subb_u32 s[sgprShadowLimitB+1], s[sgprShadowLimitB+1], 0 // limit -= inc)
s_cmp_eq_u32 s[sgprShadowLimitB+1], 0              // are we within 2^32?
s_cmov_b32 s[sgprSrdB+2], s[sgprShadowLimitB+0]    // Move shadow to real if we are within 2^32
s_waitcnt lgkmcnt(4)                               // lgkmcnt=0 vmcnt=-1wait for prior local read local write old=2, new=4 newLW=0 newLR=2
v_mfma_f32_16x16x4_f32 v[0+0:3+0], v[vgprValuB_X1_I0+0+0+0], v[vgprValuA_X1_I0+0+0+0], v[0:3]
/*  mfmaIndex:5  */
/* localReadsVacancy: latencyLeft 5 */
_ds_load_b32 v[vgprValuA_X3_I0+0], v[vgprLocalReadAddrA] offset:6144 // L -> Reg lro=1536 swapByteOffset=0 ti=128 vIdx=0 rIdx=0 oIdx=0 buffer=3 iui=0
_ds_load_b32 v[vgprValuB_X3_I0+0], v[vgprLocalReadAddrB] offset:1536 // L -> Reg lro=384 swapByteOffset=0 ti=32 vIdx=0 rIdx=0 oIdx=0 buffer=3 iui=0
v_mfma_f32_16x16x4_f32 v[4+0:7+0], v[vgprValuB_X1_I0+0+0+0], v[vgprValuA_X1_I0+1+0+0], v[4:7]
/*  mfmaIndex:6  */
/* localReadsVacancy: latencyLeft 5 */
_ds_load_b32 v[vgprValuA_X3_I0+1], v[vgprLocalReadAddrA] offset:6148 // L -> Reg lro=1536 swapByteOffset=0 ti=128 vIdx=0 rIdx=0 oIdx=0 buffer=3 iui=0
_ds_load_b32 v[vgprValuB_X3_I0+1], v[vgprLocalReadAddrB] offset:1540 // L -> Reg lro=384 swapByteOffset=0 ti=32 vIdx=0 rIdx=0 oIdx=0 buffer=3 iui=0
v_mfma_f32_16x16x4_f32 v[12+0:15+0], v[vgprValuB_X1_I0+1+0+0], v[vgprValuA_X1_I0+1+0+0], v[12:15]
/*  mfmaIndex:7  */
/* localReadsVacancy: latencyLeft 5 */
_ds_load_b32 v[vgprValuA_X4_I0+0], v[vgprLocalReadAddrA] offset:8192 // L -> Reg lro=2048 swapByteOffset=0 ti=128 vIdx=0 rIdx=0 oIdx=0 buffer=4 iui=0
_ds_load_b32 v[vgprValuB_X4_I0+0], v[vgprLocalReadAddrB] offset:2048 // L -> Reg lro=512 swapByteOffset=0 ti=32 vIdx=0 rIdx=0 oIdx=0 buffer=4 iui=0
v_mfma_f32_16x16x4_f32 v[8+0:11+0], v[vgprValuB_X1_I0+1+0+0], v[vgprValuA_X1_I0+0+0+0], v[8:11]
/* numPrefetchIter=0 */
/* dataAtIterA=0 numReadsIterA=2 skipReadsIterA=1 readsPerIterA=2 */
/* dataAtIterB=0 numReadsIterB=2 skipReadsIterB=1 readsPerIterB=2 */


/* iter 2 */

/*  grEndMfmaIndex:4, lwStartMfmaIndex:33, lwEndMfmaIndex:58  */
/*  numMfmaForLR:3, barrierMfmaIndex:60, LocalWritePerMfma:0.375 */
/*  mfmaIndex:8  */
/* localReadsVacancy: latencyLeft 5 */
_ds_load_b32 v[vgprValuA_X4_I0+1], v[vgprLocalReadAddrA] offset:8196 // L -> Reg lro=2048 swapByteOffset=0 ti=128 vIdx=0 rIdx=0 oIdx=0 buffer=4 iui=0
_ds_load_b32 v[vgprValuB_X4_I0+1], v[vgprLocalReadAddrB] offset:2052 // L -> Reg lro=512 swapByteOffset=0 ti=32 vIdx=0 rIdx=0 oIdx=0 buffer=4 iui=0
s_waitcnt lgkmcnt(8)                               // lgkmcnt=0 vmcnt=-1wait for prior local read local write old=4, new=4 newLW=0 newLR=0
v_mfma_f32_16x16x4_f32 v[0+0:3+0], v[vgprValuB_X2_I0+0+0+0], v[vgprValuA_X2_I0+0+0+0], v[0:3]
/*  mfmaIndex:9  */
/* localReadsVacancy: latencyLeft 5 */
_ds_load_b32 v[vgprValuA_X5_I0+0], v[vgprLocalReadAddrA] offset:10240 // L -> Reg lro=2560 swapByteOffset=0 ti=128 vIdx=0 rIdx=0 oIdx=0 buffer=5 iui=0
_ds_load_b32 v[vgprValuB_X5_I0+0], v[vgprLocalReadAddrB] offset:2560 // L -> Reg lro=640 swapByteOffset=0 ti=32 vIdx=0 rIdx=0 oIdx=0 buffer=5 iui=0
v_mfma_f32_16x16x4_f32 v[4+0:7+0], v[vgprValuB_X2_I0+0+0+0], v[vgprValuA_X2_I0+1+0+0], v[4:7]
/*  mfmaIndex:10  */
/* localReadsVacancy: latencyLeft 5 */
_ds_load_b32 v[vgprValuA_X5_I0+1], v[vgprLocalReadAddrA] offset:10244 // L -> Reg lro=2560 swapByteOffset=0 ti=128 vIdx=0 rIdx=0 oIdx=0 buffer=5 iui=0
_ds_load_b32 v[vgprValuB_X5_I0+1], v[vgprLocalReadAddrB] offset:2564 // L -> Reg lro=640 swapByteOffset=0 ti=32 vIdx=0 rIdx=0 oIdx=0 buffer=5 iui=0
v_mfma_f32_16x16x4_f32 v[12+0:15+0], v[vgprValuB_X2_I0+1+0+0], v[vgprValuA_X2_I0+1+0+0], v[12:15]
/*  mfmaIndex:11  */
/* localReadsVacancy: latencyLeft 5 */
_ds_load_b32 v[vgprValuA_X6_I0+0], v[vgprLocalReadAddrA] offset:12288 // L -> Reg lro=3072 swapByteOffset=0 ti=128 vIdx=0 rIdx=0 oIdx=0 buffer=6 iui=0
_ds_load_b32 v[vgprValuB_X6_I0+0], v[vgprLocalReadAddrB] offset:3072 // L -> Reg lro=768 swapByteOffset=0 ti=32 vIdx=0 rIdx=0 oIdx=0 buffer=6 iui=0
v_mfma_f32_16x16x4_f32 v[8+0:11+0], v[vgprValuB_X2_I0+1+0+0], v[vgprValuA_X2_I0+0+0+0], v[8:11]
/* numPrefetchIter=0 */
/* dataAtIterA=1 numReadsIterA=3 skipReadsIterA=1 readsPerIterA=2 */
/* dataAtIterB=1 numReadsIterB=3 skipReadsIterB=1 readsPerIterB=2 */


/* iter 3 */

/*  grEndMfmaIndex:4, lwStartMfmaIndex:33, lwEndMfmaIndex:58  */
/*  numMfmaForLR:3, barrierMfmaIndex:60, LocalWritePerMfma:0.375 */
/*  mfmaIndex:12  */
/* localReadsVacancy: latencyLeft 5 */
_ds_load_b32 v[vgprValuA_X6_I0+1], v[vgprLocalReadAddrA] offset:12292 // L -> Reg lro=3072 swapByteOffset=0 ti=128 vIdx=0 rIdx=0 oIdx=0 buffer=6 iui=0
_ds_load_b32 v[vgprValuB_X6_I0+1], v[vgprLocalReadAddrB] offset:3076 // L -> Reg lro=768 swapByteOffset=0 ti=32 vIdx=0 rIdx=0 oIdx=0 buffer=6 iui=0
s_waitcnt lgkmcnt(10)                              // lgkmcnt=0 vmcnt=-1wait for prior local read local write old=2, new=2 newLW=0 newLR=0
v_mfma_f32_16x16x4_f32 v[0+0:3+0], v[vgprValuB_X3_I0+0+0+0], v[vgprValuA_X3_I0+0+0+0], v[0:3]
/*  mfmaIndex:13  */
/* localReadsVacancy: latencyLeft 5 */
_ds_load_b32 v[vgprValuA_X7_I0+0], v[vgprLocalReadAddrA] offset:14336 // L -> Reg lro=3584 swapByteOffset=0 ti=128 vIdx=0 rIdx=0 oIdx=0 buffer=7 iui=0
_ds_load_b32 v[vgprValuB_X7_I0+0], v[vgprLocalReadAddrB] offset:3584 // L -> Reg lro=896 swapByteOffset=0 ti=32 vIdx=0 rIdx=0 oIdx=0 buffer=7 iui=0
v_mfma_f32_16x16x4_f32 v[4+0:7+0], v[vgprValuB_X3_I0+0+0+0], v[vgprValuA_X3_I0+1+0+0], v[4:7]
/*  mfmaIndex:14  */
/* localReadsVacancy: latencyLeft 5 */
_ds_load_b32 v[vgprValuA_X7_I0+1], v[vgprLocalReadAddrA] offset:14340 // L -> Reg lro=3584 swapByteOffset=0 ti=128 vIdx=0 rIdx=0 oIdx=0 buffer=7 iui=0
_ds_load_b32 v[vgprValuB_X7_I0+1], v[vgprLocalReadAddrB] offset:3588 // L -> Reg lro=896 swapByteOffset=0 ti=32 vIdx=0 rIdx=0 oIdx=0 buffer=7 iui=0
v_mfma_f32_16x16x4_f32 v[12+0:15+0], v[vgprValuB_X3_I0+1+0+0], v[vgprValuA_X3_I0+1+0+0], v[12:15]
/*  mfmaIndex:15  */
/* localReadsVacancy: latencyLeft 5 */
_ds_load_b32 v[vgprValuA_X8_I0+0], v[vgprLocalReadAddrA] offset:16384 // L -> Reg lro=4096 swapByteOffset=0 ti=128 vIdx=0 rIdx=0 oIdx=0 buffer=8 iui=0
_ds_load_b32 v[vgprValuB_X8_I0+0], v[vgprLocalReadAddrB] offset:4096 // L -> Reg lro=1024 swapByteOffset=0 ti=32 vIdx=0 rIdx=0 oIdx=0 buffer=8 iui=0
v_mfma_f32_16x16x4_f32 v[8+0:11+0], v[vgprValuB_X3_I0+1+0+0], v[vgprValuA_X3_I0+0+0+0], v[8:11]
/* numPrefetchIter=0 */
/* dataAtIterA=2 numReadsIterA=4 skipReadsIterA=1 readsPerIterA=2 */
/* dataAtIterB=2 numReadsIterB=4 skipReadsIterB=1 readsPerIterB=2 */


/* iter 4 */

/*  grEndMfmaIndex:4, lwStartMfmaIndex:33, lwEndMfmaIndex:58  */
/*  numMfmaForLR:3, barrierMfmaIndex:60, LocalWritePerMfma:0.375 */
/*  mfmaIndex:16  */
/* localReadsVacancy: latencyLeft 5 */
_ds_load_b32 v[vgprValuA_X8_I0+1], v[vgprLocalReadAddrA] offset:16388 // L -> Reg lro=4096 swapByteOffset=0 ti=128 vIdx=0 rIdx=0 oIdx=0 buffer=8 iui=0
_ds_load_b32 v[vgprValuB_X8_I0+1], v[vgprLocalReadAddrB] offset:4100 // L -> Reg lro=1024 swapByteOffset=0 ti=32 vIdx=0 rIdx=0 oIdx=0 buffer=8 iui=0
s_waitcnt lgkmcnt(15)                              // lgkmcnt=0 vmcnt=-1wait for prior local read local write old=4, new=4 newLW=0 newLR=0
v_mfma_f32_16x16x4_f32 v[0+0:3+0], v[vgprValuB_X4_I0+0+0+0], v[vgprValuA_X4_I0+0+0+0], v[0:3]
/*  mfmaIndex:17  */
/* localReadsVacancy: latencyLeft 5 */
_ds_load_b32 v[vgprValuA_X9_I0+0], v[vgprLocalReadAddrA] offset:18432 // L -> Reg lro=4608 swapByteOffset=0 ti=128 vIdx=0 rIdx=0 oIdx=0 buffer=9 iui=0
_ds_load_b32 v[vgprValuB_X9_I0+0], v[vgprLocalReadAddrB] offset:4608 // L -> Reg lro=1152 swapByteOffset=0 ti=32 vIdx=0 rIdx=0 oIdx=0 buffer=9 iui=0
v_mfma_f32_16x16x4_f32 v[4+0:7+0], v[vgprValuB_X4_I0+0+0+0], v[vgprValuA_X4_I0+1+0+0], v[4:7]
/*  mfmaIndex:18  */
/* localReadsVacancy: latencyLeft 5 */
_ds_load_b32 v[vgprValuA_X9_I0+1], v[vgprLocalReadAddrA] offset:18436 // L -> Reg lro=4608 swapByteOffset=0 ti=128 vIdx=0 rIdx=0 oIdx=0 buffer=9 iui=0
_ds_load_b32 v[vgprValuB_X9_I0+1], v[vgprLocalReadAddrB] offset:4612 // L -> Reg lro=1152 swapByteOffset=0 ti=32 vIdx=0 rIdx=0 oIdx=0 buffer=9 iui=0
v_mfma_f32_16x16x4_f32 v[12+0:15+0], v[vgprValuB_X4_I0+1+0+0], v[vgprValuA_X4_I0+1+0+0], v[12:15]
/*  mfmaIndex:19  */
/* localReadsVacancy: latencyLeft 5 */
_ds_load_b32 v[vgprValuA_X10_I0+0], v[vgprLocalReadAddrA] offset:20480 // L -> Reg lro=5120 swapByteOffset=0 ti=128 vIdx=0 rIdx=0 oIdx=0 buffer=10 iui=0
_ds_load_b32 v[vgprValuB_X10_I0+0], v[vgprLocalReadAddrB] offset:5120 // L -> Reg lro=1280 swapByteOffset=0 ti=32 vIdx=0 rIdx=0 oIdx=0 buffer=10 iui=0
v_mfma_f32_16x16x4_f32 v[8+0:11+0], v[vgprValuB_X4_I0+1+0+0], v[vgprValuA_X4_I0+0+0+0], v[8:11]
/* numPrefetchIter=0 */
/* dataAtIterA=3 numReadsIterA=5 skipReadsIterA=1 readsPerIterA=2 */
/* dataAtIterB=3 numReadsIterB=5 skipReadsIterB=1 readsPerIterB=2 */


/* iter 5 */

/*  grEndMfmaIndex:4, lwStartMfmaIndex:33, lwEndMfmaIndex:58  */
/*  numMfmaForLR:3, barrierMfmaIndex:60, LocalWritePerMfma:0.375 */
/*  mfmaIndex:20  */
/* localReadsVacancy: latencyLeft 5 */
_ds_load_b32 v[vgprValuA_X10_I0+1], v[vgprLocalReadAddrA] offset:20484 // L -> Reg lro=5120 swapByteOffset=0 ti=128 vIdx=0 rIdx=0 oIdx=0 buffer=10 iui=0
_ds_load_b32 v[vgprValuB_X10_I0+1], v[vgprLocalReadAddrB] offset:5124 // L -> Reg lro=1280 swapByteOffset=0 ti=32 vIdx=0 rIdx=0 oIdx=0 buffer=10 iui=0
s_waitcnt lgkmcnt(15)                              // lgkmcnt=0 vmcnt=-1wait for prior local read local write old=4, new=4 newLW=0 newLR=0
v_mfma_f32_16x16x4_f32 v[0+0:3+0], v[vgprValuB_X5_I0+0+0+0], v[vgprValuA_X5_I0+0+0+0], v[0:3]
/*  mfmaIndex:21  */
/* localReadsVacancy: latencyLeft 5 */
_ds_load_b32 v[vgprValuA_X11_I0+0], v[vgprLocalReadAddrA] offset:22528 // L -> Reg lro=5632 swapByteOffset=0 ti=128 vIdx=0 rIdx=0 oIdx=0 buffer=11 iui=0
_ds_load_b32 v[vgprValuB_X11_I0+0], v[vgprLocalReadAddrB] offset:5632 // L -> Reg lro=1408 swapByteOffset=0 ti=32 vIdx=0 rIdx=0 oIdx=0 buffer=11 iui=0
v_mfma_f32_16x16x4_f32 v[4+0:7+0], v[vgprValuB_X5_I0+0+0+0], v[vgprValuA_X5_I0+1+0+0], v[4:7]
/*  mfmaIndex:22  */
/* localReadsVacancy: latencyLeft 5 */
_ds_load_b32 v[vgprValuA_X11_I0+1], v[vgprLocalReadAddrA] offset:22532 // L -> Reg lro=5632 swapByteOffset=0 ti=128 vIdx=0 rIdx=0 oIdx=0 buffer=11 iui=0
_ds_load_b32 v[vgprValuB_X11_I0+1], v[vgprLocalReadAddrB] offset:5636 // L -> Reg lro=1408 swapByteOffset=0 ti=32 vIdx=0 rIdx=0 oIdx=0 buffer=11 iui=0
v_mfma_f32_16x16x4_f32 v[12+0:15+0], v[vgprValuB_X5_I0+1+0+0], v[vgprValuA_X5_I0+1+0+0], v[12:15]
/*  mfmaIndex:23  */
/* localReadsVacancy: latencyLeft 5 */
_ds_load_b32 v[vgprValuA_X12_I0+0], v[vgprLocalReadAddrA] offset:24576 // L -> Reg lro=6144 swapByteOffset=0 ti=128 vIdx=0 rIdx=0 oIdx=0 buffer=12 iui=0
_ds_load_b32 v[vgprValuB_X12_I0+0], v[vgprLocalReadAddrB] offset:6144 // L -> Reg lro=1536 swapByteOffset=0 ti=32 vIdx=0 rIdx=0 oIdx=0 buffer=12 iui=0
v_mfma_f32_16x16x4_f32 v[8+0:11+0], v[vgprValuB_X5_I0+1+0+0], v[vgprValuA_X5_I0+0+0+0], v[8:11]
/* numPrefetchIter=0 */
/* dataAtIterA=4 numReadsIterA=6 skipReadsIterA=1 readsPerIterA=2 */
/* dataAtIterB=4 numReadsIterB=6 skipReadsIterB=1 readsPerIterB=2 */


/* iter 6 */

/*  grEndMfmaIndex:4, lwStartMfmaIndex:33, lwEndMfmaIndex:58  */
/*  numMfmaForLR:3, barrierMfmaIndex:60, LocalWritePerMfma:0.375 */
/*  mfmaIndex:24  */
/* localReadsVacancy: latencyLeft 5 */
_ds_load_b32 v[vgprValuA_X12_I0+1], v[vgprLocalReadAddrA] offset:24580 // L -> Reg lro=6144 swapByteOffset=0 ti=128 vIdx=0 rIdx=0 oIdx=0 buffer=12 iui=0
_ds_load_b32 v[vgprValuB_X12_I0+1], v[vgprLocalReadAddrB] offset:6148 // L -> Reg lro=1536 swapByteOffset=0 ti=32 vIdx=0 rIdx=0 oIdx=0 buffer=12 iui=0
s_waitcnt lgkmcnt(15)                              // lgkmcnt=0 vmcnt=-1wait for prior local read local write old=4, new=4 newLW=0 newLR=0
v_mfma_f32_16x16x4_f32 v[0+0:3+0], v[vgprValuB_X6_I0+0+0+0], v[vgprValuA_X6_I0+0+0+0], v[0:3]
/*  mfmaIndex:25  */
/* localReadsVacancy: latencyLeft 5 */
_ds_load_b32 v[vgprValuA_X13_I0+0], v[vgprLocalReadAddrA] offset:26624 // L -> Reg lro=6656 swapByteOffset=0 ti=128 vIdx=0 rIdx=0 oIdx=0 buffer=13 iui=0
_ds_load_b32 v[vgprValuB_X13_I0+0], v[vgprLocalReadAddrB] offset:6656 // L -> Reg lro=1664 swapByteOffset=0 ti=32 vIdx=0 rIdx=0 oIdx=0 buffer=13 iui=0
v_mfma_f32_16x16x4_f32 v[4+0:7+0], v[vgprValuB_X6_I0+0+0+0], v[vgprValuA_X6_I0+1+0+0], v[4:7]
/*  mfmaIndex:26  */
/* localReadsVacancy: latencyLeft 5 */
_ds_load_b32 v[vgprValuA_X13_I0+1], v[vgprLocalReadAddrA] offset:26628 // L -> Reg lro=6656 swapByteOffset=0 ti=128 vIdx=0 rIdx=0 oIdx=0 buffer=13 iui=0
_ds_load_b32 v[vgprValuB_X13_I0+1], v[vgprLocalReadAddrB] offset:6660 // L -> Reg lro=1664 swapByteOffset=0 ti=32 vIdx=0 rIdx=0 oIdx=0 buffer=13 iui=0
v_mfma_f32_16x16x4_f32 v[12+0:15+0], v[vgprValuB_X6_I0+1+0+0], v[vgprValuA_X6_I0+1+0+0], v[12:15]
/*  mfmaIndex:27  */
/* localReadsVacancy: latencyLeft 5 */
_ds_load_b32 v[vgprValuA_X14_I0+0], v[vgprLocalReadAddrA] offset:28672 // L -> Reg lro=7168 swapByteOffset=0 ti=128 vIdx=0 rIdx=0 oIdx=0 buffer=14 iui=0
_ds_load_b32 v[vgprValuB_X14_I0+0], v[vgprLocalReadAddrB] offset:7168 // L -> Reg lro=1792 swapByteOffset=0 ti=32 vIdx=0 rIdx=0 oIdx=0 buffer=14 iui=0
v_mfma_f32_16x16x4_f32 v[8+0:11+0], v[vgprValuB_X6_I0+1+0+0], v[vgprValuA_X6_I0+0+0+0], v[8:11]
/* numPrefetchIter=0 */
/* dataAtIterA=5 numReadsIterA=7 skipReadsIterA=1 readsPerIterA=2 */
/* dataAtIterB=5 numReadsIterB=7 skipReadsIterB=1 readsPerIterB=2 */


/* iter 7 */

/*  grEndMfmaIndex:4, lwStartMfmaIndex:33, lwEndMfmaIndex:58  */
/*  numMfmaForLR:3, barrierMfmaIndex:60, LocalWritePerMfma:0.375 */
/*  mfmaIndex:28  */
/* localReadsVacancy: latencyLeft 5 */
_ds_load_b32 v[vgprValuA_X14_I0+1], v[vgprLocalReadAddrA] offset:28676 // L -> Reg lro=7168 swapByteOffset=0 ti=128 vIdx=0 rIdx=0 oIdx=0 buffer=14 iui=0
_ds_load_b32 v[vgprValuB_X14_I0+1], v[vgprLocalReadAddrB] offset:7172 // L -> Reg lro=1792 swapByteOffset=0 ti=32 vIdx=0 rIdx=0 oIdx=0 buffer=14 iui=0
s_waitcnt lgkmcnt(15)                              // lgkmcnt=0 vmcnt=-1wait for prior local read local write old=4, new=4 newLW=0 newLR=0
v_mfma_f32_16x16x4_f32 v[0+0:3+0], v[vgprValuB_X7_I0+0+0+0], v[vgprValuA_X7_I0+0+0+0], v[0:3]
/*  mfmaIndex:29  */
/* localReadsVacancy: latencyLeft 5 */
_ds_load_b32 v[vgprValuA_X15_I0+0], v[vgprLocalReadAddrA] offset:30720 // L -> Reg lro=7680 swapByteOffset=0 ti=128 vIdx=0 rIdx=0 oIdx=0 buffer=15 iui=0
_ds_load_b32 v[vgprValuB_X15_I0+0], v[vgprLocalReadAddrB] offset:7680 // L -> Reg lro=1920 swapByteOffset=0 ti=32 vIdx=0 rIdx=0 oIdx=0 buffer=15 iui=0
v_mfma_f32_16x16x4_f32 v[4+0:7+0], v[vgprValuB_X7_I0+0+0+0], v[vgprValuA_X7_I0+1+0+0], v[4:7]
/*  mfmaIndex:30  */
/* localReadsVacancy: latencyLeft 5 */
_ds_load_b32 v[vgprValuA_X15_I0+1], v[vgprLocalReadAddrA] offset:30724 // L -> Reg lro=7680 swapByteOffset=0 ti=128 vIdx=0 rIdx=0 oIdx=0 buffer=15 iui=0
_ds_load_b32 v[vgprValuB_X15_I0+1], v[vgprLocalReadAddrB] offset:7684 // L -> Reg lro=1920 swapByteOffset=0 ti=32 vIdx=0 rIdx=0 oIdx=0 buffer=15 iui=0
v_mfma_f32_16x16x4_f32 v[12+0:15+0], v[vgprValuB_X7_I0+1+0+0], v[vgprValuA_X7_I0+1+0+0], v[12:15]
/*  mfmaIndex:31  */
/* localReadsVacancy: latencyLeft 5 */
v_mfma_f32_16x16x4_f32 v[8+0:11+0], v[vgprValuB_X7_I0+1+0+0], v[vgprValuA_X7_I0+0+0+0], v[8:11]
/* numPrefetchIter=0 */
/* dataAtIterA=6 numReadsIterA=8 skipReadsIterA=1 readsPerIterA=2 */
/* dataAtIterB=6 numReadsIterB=8 skipReadsIterB=1 readsPerIterB=2 */


/* iter 8 */

/*  grEndMfmaIndex:4, lwStartMfmaIndex:33, lwEndMfmaIndex:58  */
/*  numMfmaForLR:3, barrierMfmaIndex:60, LocalWritePerMfma:0.375 */
/*  mfmaIndex:32  */
/* localReadsVacancy: latencyLeft 5 */
/* 1 LDS buffer: read-sync-write */
s_waitcnt lgkmcnt(0)                               // 
s_barrier                                          // 
s_waitcnt lgkmcnt(15)                              // lgkmcnt=0 vmcnt=-1wait for prior local read local write old=4, new=4 newLW=0 newLR=0
v_mfma_f32_16x16x4_f32 v[0+0:3+0], v[vgprValuB_X8_I0+0+0+0], v[vgprValuA_X8_I0+0+0+0], v[0:3]
/*  mfmaIndex:33  */
s_setprio 3                                        // store optimization
/* sched write - iter 8 writesPerItem=1 */
s_waitcnt vmcnt(0)                                 // lgkmcnt=-1 vmcnt=0wait for global read before writing to local
_ds_store_b128 v[vgprLocalWriteAddrA], v[vgprG2LA+0:vgprG2LA+0+3] offset:0 // lwoA_0_0_0_0 = (0*LSCA) + (0*LSPA)(*MT0I+PAD) = 0
v_mfma_f32_16x16x4_f32 v[4+0:7+0], v[vgprValuB_X8_I0+0+0+0], v[vgprValuA_X8_I0+1+0+0], v[4:7]
/*  mfmaIndex:34  */
_buffer_load_b128 v[vgprG2LA+0:vgprG2LA+0+3], v[vgprGlobalReadOffsetA+0], s[sgprSrdA:sgprSrdA+3], 0, offen offset:0 // G -> Reg 0_0_0_0
v_mfma_f32_16x16x4_f32 v[12+0:15+0], v[vgprValuB_X8_I0+1+0+0], v[vgprValuA_X8_I0+1+0+0], v[12:15]
/*  mfmaIndex:35  */
/* sched write - iter 8 writesPerItem=1 */
s_waitcnt vmcnt(0)                                 // lgkmcnt=-1 vmcnt=0wait for global read before writing to local
_ds_store_b128 v[vgprLocalWriteAddrA], v[vgprG2LA+4:vgprG2LA+4+3] offset:4096 // lwoA_0_0_1_0 = (0*LSCA) + (1*LSPA)(*MT0I+PAD) = 4096
v_mfma_f32_16x16x4_f32 v[8+0:11+0], v[vgprValuB_X8_I0+1+0+0], v[vgprValuA_X8_I0+0+0+0], v[8:11]
/* numPrefetchIter=0 */
/* dataAtIterA=7 numReadsIterA=9 skipReadsIterA=1 readsPerIterA=2 */
/* dataAtIterB=7 numReadsIterB=9 skipReadsIterB=1 readsPerIterB=2 */


/* iter 9 */

/*  grEndMfmaIndex:4, lwStartMfmaIndex:33, lwEndMfmaIndex:58  */
/*  numMfmaForLR:3, barrierMfmaIndex:60, LocalWritePerMfma:0.375 */
/*  mfmaIndex:36  */
_buffer_load_b128 v[vgprG2LA+4:vgprG2LA+4+3], v[vgprGlobalReadOffsetA+1], s[sgprSrdA:sgprSrdA+3], 0, offen offset:0 // G -> Reg 0_0_1_0
v_mfma_f32_16x16x4_f32 v[0+0:3+0], v[vgprValuB_X9_I0+0+0+0], v[vgprValuA_X9_I0+0+0+0], v[0:3]
/*  mfmaIndex:37  */
v_mfma_f32_16x16x4_f32 v[4+0:7+0], v[vgprValuB_X9_I0+0+0+0], v[vgprValuA_X9_I0+1+0+0], v[4:7]
/*  mfmaIndex:38  */
/* sched write - iter 9 writesPerItem=1 */
s_waitcnt vmcnt(0)                                 // lgkmcnt=-1 vmcnt=0wait for global read before writing to local
_ds_store_b128 v[vgprLocalWriteAddrA], v[vgprG2LA+8:vgprG2LA+8+3] offset:8192 // lwoA_0_0_2_0 = (0*LSCA) + (2*LSPA)(*MT0I+PAD) = 8192
v_mfma_f32_16x16x4_f32 v[12+0:15+0], v[vgprValuB_X9_I0+1+0+0], v[vgprValuA_X9_I0+1+0+0], v[12:15]
/*  mfmaIndex:39  */
_buffer_load_b128 v[vgprG2LA+8:vgprG2LA+8+3], v[vgprGlobalReadOffsetA+2], s[sgprSrdA:sgprSrdA+3], 0, offen offset:0 // G -> Reg 0_0_2_0
v_mfma_f32_16x16x4_f32 v[8+0:11+0], v[vgprValuB_X9_I0+1+0+0], v[vgprValuA_X9_I0+0+0+0], v[8:11]


/* iter 10 */

/*  grEndMfmaIndex:4, lwStartMfmaIndex:33, lwEndMfmaIndex:58  */
/*  numMfmaForLR:3, barrierMfmaIndex:60, LocalWritePerMfma:0.375 */
/*  mfmaIndex:40  */
v_mfma_f32_16x16x4_f32 v[0+0:3+0], v[vgprValuB_X10_I0+0+0+0], v[vgprValuA_X10_I0+0+0+0], v[0:3]
/*  mfmaIndex:41  */
/* sched write - iter 10 writesPerItem=1 */
s_waitcnt vmcnt(0)                                 // lgkmcnt=-1 vmcnt=0wait for global read before writing to local
_ds_store_b128 v[vgprLocalWriteAddrA], v[vgprG2LA+12:vgprG2LA+12+3] offset:12288 // lwoA_0_0_3_0 = (0*LSCA) + (3*LSPA)(*MT0I+PAD) = 12288
v_mfma_f32_16x16x4_f32 v[4+0:7+0], v[vgprValuB_X10_I0+0+0+0], v[vgprValuA_X10_I0+1+0+0], v[4:7]
/*  mfmaIndex:42  */
_buffer_load_b128 v[vgprG2LA+12:vgprG2LA+12+3], v[vgprGlobalReadOffsetA+3], s[sgprSrdA:sgprSrdA+3], 0, offen offset:0 // G -> Reg 0_0_3_0
v_mfma_f32_16x16x4_f32 v[12+0:15+0], v[vgprValuB_X10_I0+1+0+0], v[vgprValuA_X10_I0+1+0+0], v[12:15]
/*  mfmaIndex:43  */
/* sched write - iter 10 writesPerItem=1 */
s_waitcnt vmcnt(0)                                 // lgkmcnt=-1 vmcnt=0wait for global read before writing to local
_ds_store_b128 v[vgprLocalWriteAddrA], v[vgprG2LA+16:vgprG2LA+16+3] offset:16384 // lwoA_0_0_4_0 = (0*LSCA) + (4*LSPA)(*MT0I+PAD) = 16384
v_mfma_f32_16x16x4_f32 v[8+0:11+0], v[vgprValuB_X10_I0+1+0+0], v[vgprValuA_X10_I0+0+0+0], v[8:11]


/* iter 11 */

/*  grEndMfmaIndex:4, lwStartMfmaIndex:33, lwEndMfmaIndex:58  */
/*  numMfmaForLR:3, barrierMfmaIndex:60, LocalWritePerMfma:0.375 */
/*  mfmaIndex:44  */
_buffer_load_b128 v[vgprG2LA+16:vgprG2LA+16+3], v[vgprGlobalReadOffsetA+4], s[sgprSrdA:sgprSrdA+3], 0, offen offset:0 // G -> Reg 0_0_4_0
v_mfma_f32_16x16x4_f32 v[0+0:3+0], v[vgprValuB_X11_I0+0+0+0], v[vgprValuA_X11_I0+0+0+0], v[0:3]
/*  mfmaIndex:45  */
v_mfma_f32_16x16x4_f32 v[4+0:7+0], v[vgprValuB_X11_I0+0+0+0], v[vgprValuA_X11_I0+1+0+0], v[4:7]
/*  mfmaIndex:46  */
/* sched write - iter 11 writesPerItem=1 */
s_waitcnt vmcnt(0)                                 // lgkmcnt=-1 vmcnt=0wait for global read before writing to local
_ds_store_b128 v[vgprLocalWriteAddrA], v[vgprG2LA+20:vgprG2LA+20+3] offset:20480 // lwoA_0_0_5_0 = (0*LSCA) + (5*LSPA)(*MT0I+PAD) = 20480
v_mfma_f32_16x16x4_f32 v[12+0:15+0], v[vgprValuB_X11_I0+1+0+0], v[vgprValuA_X11_I0+1+0+0], v[12:15]
/*  mfmaIndex:47  */
_buffer_load_b128 v[vgprG2LA+20:vgprG2LA+20+3], v[vgprGlobalReadOffsetA+5], s[sgprSrdA:sgprSrdA+3], 0, offen offset:0 // G -> Reg 0_0_5_0
v_mfma_f32_16x16x4_f32 v[8+0:11+0], v[vgprValuB_X11_I0+1+0+0], v[vgprValuA_X11_I0+0+0+0], v[8:11]


/* iter 12 */

/*  grEndMfmaIndex:4, lwStartMfmaIndex:33, lwEndMfmaIndex:58  */
/*  numMfmaForLR:3, barrierMfmaIndex:60, LocalWritePerMfma:0.375 */
/*  mfmaIndex:48  */
v_mfma_f32_16x16x4_f32 v[0+0:3+0], v[vgprValuB_X12_I0+0+0+0], v[vgprValuA_X12_I0+0+0+0], v[0:3]
/*  mfmaIndex:49  */
/* sched write - iter 12 writesPerItem=1 */
s_waitcnt vmcnt(0)                                 // lgkmcnt=-1 vmcnt=0wait for global read before writing to local
_ds_store_b128 v[vgprLocalWriteAddrA], v[vgprG2LA+24:vgprG2LA+24+3] offset:24576 // lwoA_0_0_6_0 = (0*LSCA) + (6*LSPA)(*MT0I+PAD) = 24576
v_mfma_f32_16x16x4_f32 v[4+0:7+0], v[vgprValuB_X12_I0+0+0+0], v[vgprValuA_X12_I0+1+0+0], v[4:7]
/*  mfmaIndex:50  */
_buffer_load_b128 v[vgprG2LA+24:vgprG2LA+24+3], v[vgprGlobalReadOffsetA+6], s[sgprSrdA:sgprSrdA+3], 0, offen offset:0 // G -> Reg 0_0_6_0
v_mfma_f32_16x16x4_f32 v[12+0:15+0], v[vgprValuB_X12_I0+1+0+0], v[vgprValuA_X12_I0+1+0+0], v[12:15]
/*  mfmaIndex:51  */
/* sched write - iter 12 writesPerItem=1 */
s_waitcnt vmcnt(0)                                 // lgkmcnt=-1 vmcnt=0wait for global read before writing to local
_ds_store_b128 v[vgprLocalWriteAddrA], v[vgprG2LA+28:vgprG2LA+28+3] offset:28672 // lwoA_0_0_7_0 = (0*LSCA) + (7*LSPA)(*MT0I+PAD) = 28672
v_mfma_f32_16x16x4_f32 v[8+0:11+0], v[vgprValuB_X12_I0+1+0+0], v[vgprValuA_X12_I0+0+0+0], v[8:11]


/* iter 13 */

/*  grEndMfmaIndex:4, lwStartMfmaIndex:33, lwEndMfmaIndex:58  */
/*  numMfmaForLR:3, barrierMfmaIndex:60, LocalWritePerMfma:0.375 */
/*  mfmaIndex:52  */
_buffer_load_b128 v[vgprG2LA+28:vgprG2LA+28+3], v[vgprGlobalReadOffsetA+7], s[sgprSrdA:sgprSrdA+3], 0, offen offset:0 // G -> Reg 0_0_7_0
v_mfma_f32_16x16x4_f32 v[0+0:3+0], v[vgprValuB_X13_I0+0+0+0], v[vgprValuA_X13_I0+0+0+0], v[0:3]
/*  mfmaIndex:53  */
v_mfma_f32_16x16x4_f32 v[4+0:7+0], v[vgprValuB_X13_I0+0+0+0], v[vgprValuA_X13_I0+1+0+0], v[4:7]
/*  mfmaIndex:54  */
/* sched write - iter 13 writesPerItem=1 */
s_waitcnt vmcnt(0)                                 // lgkmcnt=-1 vmcnt=0wait for global read before writing to local
_ds_store_b128 v[vgprLocalWriteAddrB], v[vgprG2LB+0:vgprG2LB+0+3] offset:0 // lwoB_0_0_0_0 = (0*LSCB) + (0*LSPB)(*MT1J+PAD) = 0
v_mfma_f32_16x16x4_f32 v[12+0:15+0], v[vgprValuB_X13_I0+1+0+0], v[vgprValuA_X13_I0+1+0+0], v[12:15]
/*  mfmaIndex:55  */
_buffer_load_b128 v[vgprG2LB+0:vgprG2LB+0+3], v[vgprGlobalReadOffsetB+0], s[sgprSrdB:sgprSrdB+3], 0, offen offset:0 // G -> Reg 0_0_0_0
v_mfma_f32_16x16x4_f32 v[8+0:11+0], v[vgprValuB_X13_I0+1+0+0], v[vgprValuA_X13_I0+0+0+0], v[8:11]


/* iter 14 (reset local read pointers iteration)  (swap and reset local write pointers iteration)  (swap local read pointers iteration)  */

/*  grEndMfmaIndex:4, lwStartMfmaIndex:33, lwEndMfmaIndex:58  */
/*  numMfmaForLR:3, barrierMfmaIndex:60, LocalWritePerMfma:0.375 */
/*  mfmaIndex:56  */
v_mfma_f32_16x16x4_f32 v[0+0:3+0], v[vgprValuB_X14_I0+0+0+0], v[vgprValuA_X14_I0+0+0+0], v[0:3]
/*  mfmaIndex:57  */
/* sched write - iter 14 writesPerItem=1 */
s_waitcnt vmcnt(0)                                 // lgkmcnt=-1 vmcnt=0wait for global read before writing to local
_ds_store_b128 v[vgprLocalWriteAddrB], v[vgprG2LB+4:vgprG2LB+4+3] offset:4096 // lwoB_0_0_1_0 = (0*LSCB) + (1*LSPB)(*MT1J+PAD) = 4096
v_mfma_f32_16x16x4_f32 v[4+0:7+0], v[vgprValuB_X14_I0+0+0+0], v[vgprValuA_X14_I0+1+0+0], v[4:7]
/*  mfmaIndex:58  */
_buffer_load_b128 v[vgprG2LB+4:vgprG2LB+4+3], v[vgprGlobalReadOffsetB+1], s[sgprSrdB:sgprSrdB+3], 0, offen offset:0 // G -> Reg 0_0_1_0

/* local write swap offsets a */

/* local write swap offsets b */
v_mfma_f32_16x16x4_f32 v[12+0:15+0], v[vgprValuB_X14_I0+1+0+0], v[vgprValuA_X14_I0+1+0+0], v[12:15]
/*  mfmaIndex:59  */

/* local read swap offsets a */

/* local read swap offsets b */

/* local read init pointers a */

/* localReadInitPointers */

/* local read init pointers b */

/* localReadInitPointers */
v_mfma_f32_16x16x4_f32 v[8+0:11+0], v[vgprValuB_X14_I0+1+0+0], v[vgprValuA_X14_I0+0+0+0], v[8:11]
s_setprio 0                                        // store optimization


/* iter 15 */

/*  grEndMfmaIndex:4, lwStartMfmaIndex:33, lwEndMfmaIndex:58  */
/*  numMfmaForLR:3, barrierMfmaIndex:60, LocalWritePerMfma:0.375 */
/*  mfmaIndex:60  */
s_waitcnt lgkmcnt(0)                               // lgkmcnt=0 vmcnt=-13wait for local write
// Skip force waitcnt0
s_barrier //
v_mfma_f32_16x16x4_f32 v[0+0:3+0], v[vgprValuB_X15_I0+0+0+0], v[vgprValuA_X15_I0+0+0+0], v[0:3]
/*  mfmaIndex:61  */
s_setprio 3                                        // store optimization
_ds_load_b32 v[vgprValuA_X0_I0+0], v[vgprLocalReadAddrA] offset:0 // L -> Reg lro=0 swapByteOffset=0 ti=128 vIdx=0 rIdx=0 oIdx=0 buffer=0 iui=0
_ds_load_b32 v[vgprValuB_X0_I0+0], v[vgprLocalReadAddrB] offset:0 // L -> Reg lro=0 swapByteOffset=0 ti=32 vIdx=0 rIdx=0 oIdx=0 buffer=0 iui=0
v_mfma_f32_16x16x4_f32 v[4+0:7+0], v[vgprValuB_X15_I0+0+0+0], v[vgprValuA_X15_I0+1+0+0], v[4:7]
/*  mfmaIndex:62  */
_ds_load_b32 v[vgprValuA_X0_I0+1], v[vgprLocalReadAddrA] offset:4 // L -> Reg lro=0 swapByteOffset=0 ti=128 vIdx=0 rIdx=0 oIdx=0 buffer=0 iui=0
_ds_load_b32 v[vgprValuB_X0_I0+1], v[vgprLocalReadAddrB] offset:4 // L -> Reg lro=0 swapByteOffset=0 ti=32 vIdx=0 rIdx=0 oIdx=0 buffer=0 iui=0
v_mfma_f32_16x16x4_f32 v[12+0:15+0], v[vgprValuB_X15_I0+1+0+0], v[vgprValuA_X15_I0+1+0+0], v[12:15]
/*  mfmaIndex:63  */
v_mfma_f32_16x16x4_f32 v[8+0:11+0], v[vgprValuB_X15_I0+1+0+0], v[vgprValuA_X15_I0+0+0+0], v[8:11]
s_setprio 0                                        // store optimization


/******************************************/
/* Unrolled Loop - End 2/2 (final)        */
/******************************************/


/* closeLoop loopL finalLoop=1 tailLoop=0 */
s_sub_u32 s[sgprLoopCounterL], s[sgprLoopCounterL], 1 // dec counterL
s_cmp_eq_i32 s[sgprLoopCounterL], 0x2              // counterL==2
s_cbranch_scc0 LoopBeginL_1                        // restart LoopL
LoopEndL_evenexit_4: // unroll loop eveniter exit
s_branch LoopEndL_2                                // exit unroll loopL (and skip second exit code)
LoopEndL_oddexit_3: // unroll loop odditer exit

/* Select high bank of LDS */
LoopEndL_2:


/* Before NLL: Check VGPR.checkin for INT8 LW */


/******************************************/
/* Ord. NoGlobalLoadLoop - Begin                                      */
/******************************************/


	;; [unrolled: 1-line block ×3, first 2 shown]
/* iter 0 */

/*  grEndMfmaIndex:4, lwStartMfmaIndex:33, lwEndMfmaIndex:58  */
/*  numMfmaForLR:3, barrierMfmaIndex:60, LocalWritePerMfma:0.375 */
/*  mfmaIndex:0  */
s_waitcnt lgkmcnt(0)                               // lgkmcnt=0 vmcnt=-1wait for prior local read local write old=0, new=0 newLW=0 newLR=0
v_mfma_f32_16x16x4_f32 v[0+0:3+0], v[vgprValuB_X0_I0+0+0+0], v[vgprValuA_X0_I0+0+0+0], v[0:3]
/*  mfmaIndex:1  */
_ds_load_b32 v[vgprValuA_X1_I0+0], v[vgprLocalReadAddrA] offset:2048 // L -> Reg lro=512 swapByteOffset=0 ti=128 vIdx=0 rIdx=0 oIdx=0 buffer=1 iui=0
_ds_load_b32 v[vgprValuB_X1_I0+0], v[vgprLocalReadAddrB] offset:512 // L -> Reg lro=128 swapByteOffset=0 ti=32 vIdx=0 rIdx=0 oIdx=0 buffer=1 iui=0

/* global read inc A loopL */
s_add_u32 s[sgprSrdA+0], s[sgprSrdA+0], s[sgprGlobalReadIncsA+0] // gra SRD += inc(lower)
s_addc_u32  s[sgprSrdA+1], s[sgprSrdA+1], 0        // gra SRD += inc(upper)
s_sub_u32 s[sgprShadowLimitA+0], s[sgprShadowLimitA+0], s[sgprGlobalReadIncsA+0] // limit -= inc)
v_mfma_f32_16x16x4_f32 v[4+0:7+0], v[vgprValuB_X0_I0+0+0+0], v[vgprValuA_X0_I0+1+0+0], v[4:7]
/*  mfmaIndex:2  */
_ds_load_b32 v[vgprValuA_X1_I0+1], v[vgprLocalReadAddrA] offset:2052 // L -> Reg lro=512 swapByteOffset=0 ti=128 vIdx=0 rIdx=0 oIdx=0 buffer=1 iui=0
_ds_load_b32 v[vgprValuB_X1_I0+1], v[vgprLocalReadAddrB] offset:516 // L -> Reg lro=128 swapByteOffset=0 ti=32 vIdx=0 rIdx=0 oIdx=0 buffer=1 iui=0
/* localReadsVacancy: latencyLeft 1 */
s_subb_u32 s[sgprShadowLimitA+1], s[sgprShadowLimitA+1], 0 // limit -= inc)
s_cmp_eq_u32 s[sgprShadowLimitA+1], 0              // are we within 2^32?
s_cmov_b32 s[sgprSrdA+2], s[sgprShadowLimitA+0]    // Move shadow to real if we are within 2^32
v_mfma_f32_16x16x4_f32 v[12+0:15+0], v[vgprValuB_X0_I0+1+0+0], v[vgprValuA_X0_I0+1+0+0], v[12:15]
/*  mfmaIndex:3  */
/* localReadsVacancy: latencyLeft 5 */
_ds_load_b32 v[vgprValuA_X2_I0+0], v[vgprLocalReadAddrA] offset:4096 // L -> Reg lro=1024 swapByteOffset=0 ti=128 vIdx=0 rIdx=0 oIdx=0 buffer=2 iui=0
_ds_load_b32 v[vgprValuB_X2_I0+0], v[vgprLocalReadAddrB] offset:1024 // L -> Reg lro=256 swapByteOffset=0 ti=32 vIdx=0 rIdx=0 oIdx=0 buffer=2 iui=0

/* global read inc B loopL */
s_add_u32 s[sgprSrdB+0], s[sgprSrdB+0], s[sgprGlobalReadIncsB+0] // gra SRD += inc(lower)
s_addc_u32  s[sgprSrdB+1], s[sgprSrdB+1], 0        // gra SRD += inc(upper)
s_sub_u32 s[sgprShadowLimitB+0], s[sgprShadowLimitB+0], s[sgprGlobalReadIncsB+0] // limit -= inc)
v_mfma_f32_16x16x4_f32 v[8+0:11+0], v[vgprValuB_X0_I0+1+0+0], v[vgprValuA_X0_I0+0+0+0], v[8:11]
/* numPrefetchIter=0 */
/* dataAtIterA=-1 numReadsIterA=1 skipReadsIterA=1 readsPerIterA=2 */
/* dataAtIterB=-1 numReadsIterB=1 skipReadsIterB=1 readsPerIterB=2 */


/* iter 1 */

/*  grEndMfmaIndex:4, lwStartMfmaIndex:33, lwEndMfmaIndex:58  */
/*  numMfmaForLR:3, barrierMfmaIndex:60, LocalWritePerMfma:0.375 */
/*  mfmaIndex:4  */
_ds_load_b32 v[vgprValuA_X2_I0+1], v[vgprLocalReadAddrA] offset:4100 // L -> Reg lro=1024 swapByteOffset=0 ti=128 vIdx=0 rIdx=0 oIdx=0 buffer=2 iui=0
_ds_load_b32 v[vgprValuB_X2_I0+1], v[vgprLocalReadAddrB] offset:1028 // L -> Reg lro=256 swapByteOffset=0 ti=32 vIdx=0 rIdx=0 oIdx=0 buffer=2 iui=0
/* localReadsVacancy: latencyLeft 1 */
s_subb_u32 s[sgprShadowLimitB+1], s[sgprShadowLimitB+1], 0 // limit -= inc)
s_cmp_eq_u32 s[sgprShadowLimitB+1], 0              // are we within 2^32?
s_cmov_b32 s[sgprSrdB+2], s[sgprShadowLimitB+0]    // Move shadow to real if we are within 2^32
s_waitcnt lgkmcnt(4)                               // lgkmcnt=0 vmcnt=-1wait for prior local read local write old=2, new=4 newLW=0 newLR=2
v_mfma_f32_16x16x4_f32 v[0+0:3+0], v[vgprValuB_X1_I0+0+0+0], v[vgprValuA_X1_I0+0+0+0], v[0:3]
/*  mfmaIndex:5  */
/* localReadsVacancy: latencyLeft 5 */
_ds_load_b32 v[vgprValuA_X3_I0+0], v[vgprLocalReadAddrA] offset:6144 // L -> Reg lro=1536 swapByteOffset=0 ti=128 vIdx=0 rIdx=0 oIdx=0 buffer=3 iui=0
_ds_load_b32 v[vgprValuB_X3_I0+0], v[vgprLocalReadAddrB] offset:1536 // L -> Reg lro=384 swapByteOffset=0 ti=32 vIdx=0 rIdx=0 oIdx=0 buffer=3 iui=0
v_mfma_f32_16x16x4_f32 v[4+0:7+0], v[vgprValuB_X1_I0+0+0+0], v[vgprValuA_X1_I0+1+0+0], v[4:7]
/*  mfmaIndex:6  */
/* localReadsVacancy: latencyLeft 5 */
_ds_load_b32 v[vgprValuA_X3_I0+1], v[vgprLocalReadAddrA] offset:6148 // L -> Reg lro=1536 swapByteOffset=0 ti=128 vIdx=0 rIdx=0 oIdx=0 buffer=3 iui=0
_ds_load_b32 v[vgprValuB_X3_I0+1], v[vgprLocalReadAddrB] offset:1540 // L -> Reg lro=384 swapByteOffset=0 ti=32 vIdx=0 rIdx=0 oIdx=0 buffer=3 iui=0
v_mfma_f32_16x16x4_f32 v[12+0:15+0], v[vgprValuB_X1_I0+1+0+0], v[vgprValuA_X1_I0+1+0+0], v[12:15]
/*  mfmaIndex:7  */
/* localReadsVacancy: latencyLeft 5 */
_ds_load_b32 v[vgprValuA_X4_I0+0], v[vgprLocalReadAddrA] offset:8192 // L -> Reg lro=2048 swapByteOffset=0 ti=128 vIdx=0 rIdx=0 oIdx=0 buffer=4 iui=0
_ds_load_b32 v[vgprValuB_X4_I0+0], v[vgprLocalReadAddrB] offset:2048 // L -> Reg lro=512 swapByteOffset=0 ti=32 vIdx=0 rIdx=0 oIdx=0 buffer=4 iui=0
v_mfma_f32_16x16x4_f32 v[8+0:11+0], v[vgprValuB_X1_I0+1+0+0], v[vgprValuA_X1_I0+0+0+0], v[8:11]
/* numPrefetchIter=0 */
/* dataAtIterA=0 numReadsIterA=2 skipReadsIterA=1 readsPerIterA=2 */
/* dataAtIterB=0 numReadsIterB=2 skipReadsIterB=1 readsPerIterB=2 */


/* iter 2 */

/*  grEndMfmaIndex:4, lwStartMfmaIndex:33, lwEndMfmaIndex:58  */
/*  numMfmaForLR:3, barrierMfmaIndex:60, LocalWritePerMfma:0.375 */
/*  mfmaIndex:8  */
/* localReadsVacancy: latencyLeft 5 */
_ds_load_b32 v[vgprValuA_X4_I0+1], v[vgprLocalReadAddrA] offset:8196 // L -> Reg lro=2048 swapByteOffset=0 ti=128 vIdx=0 rIdx=0 oIdx=0 buffer=4 iui=0
_ds_load_b32 v[vgprValuB_X4_I0+1], v[vgprLocalReadAddrB] offset:2052 // L -> Reg lro=512 swapByteOffset=0 ti=32 vIdx=0 rIdx=0 oIdx=0 buffer=4 iui=0
s_waitcnt lgkmcnt(8)                               // lgkmcnt=0 vmcnt=-1wait for prior local read local write old=4, new=4 newLW=0 newLR=0
v_mfma_f32_16x16x4_f32 v[0+0:3+0], v[vgprValuB_X2_I0+0+0+0], v[vgprValuA_X2_I0+0+0+0], v[0:3]
/*  mfmaIndex:9  */
/* localReadsVacancy: latencyLeft 5 */
_ds_load_b32 v[vgprValuA_X5_I0+0], v[vgprLocalReadAddrA] offset:10240 // L -> Reg lro=2560 swapByteOffset=0 ti=128 vIdx=0 rIdx=0 oIdx=0 buffer=5 iui=0
_ds_load_b32 v[vgprValuB_X5_I0+0], v[vgprLocalReadAddrB] offset:2560 // L -> Reg lro=640 swapByteOffset=0 ti=32 vIdx=0 rIdx=0 oIdx=0 buffer=5 iui=0
v_mfma_f32_16x16x4_f32 v[4+0:7+0], v[vgprValuB_X2_I0+0+0+0], v[vgprValuA_X2_I0+1+0+0], v[4:7]
/*  mfmaIndex:10  */
/* localReadsVacancy: latencyLeft 5 */
_ds_load_b32 v[vgprValuA_X5_I0+1], v[vgprLocalReadAddrA] offset:10244 // L -> Reg lro=2560 swapByteOffset=0 ti=128 vIdx=0 rIdx=0 oIdx=0 buffer=5 iui=0
_ds_load_b32 v[vgprValuB_X5_I0+1], v[vgprLocalReadAddrB] offset:2564 // L -> Reg lro=640 swapByteOffset=0 ti=32 vIdx=0 rIdx=0 oIdx=0 buffer=5 iui=0
v_mfma_f32_16x16x4_f32 v[12+0:15+0], v[vgprValuB_X2_I0+1+0+0], v[vgprValuA_X2_I0+1+0+0], v[12:15]
/*  mfmaIndex:11  */
/* localReadsVacancy: latencyLeft 5 */
_ds_load_b32 v[vgprValuA_X6_I0+0], v[vgprLocalReadAddrA] offset:12288 // L -> Reg lro=3072 swapByteOffset=0 ti=128 vIdx=0 rIdx=0 oIdx=0 buffer=6 iui=0
_ds_load_b32 v[vgprValuB_X6_I0+0], v[vgprLocalReadAddrB] offset:3072 // L -> Reg lro=768 swapByteOffset=0 ti=32 vIdx=0 rIdx=0 oIdx=0 buffer=6 iui=0
v_mfma_f32_16x16x4_f32 v[8+0:11+0], v[vgprValuB_X2_I0+1+0+0], v[vgprValuA_X2_I0+0+0+0], v[8:11]
/* numPrefetchIter=0 */
/* dataAtIterA=1 numReadsIterA=3 skipReadsIterA=1 readsPerIterA=2 */
/* dataAtIterB=1 numReadsIterB=3 skipReadsIterB=1 readsPerIterB=2 */


/* iter 3 */

/*  grEndMfmaIndex:4, lwStartMfmaIndex:33, lwEndMfmaIndex:58  */
/*  numMfmaForLR:3, barrierMfmaIndex:60, LocalWritePerMfma:0.375 */
/*  mfmaIndex:12  */
/* localReadsVacancy: latencyLeft 5 */
_ds_load_b32 v[vgprValuA_X6_I0+1], v[vgprLocalReadAddrA] offset:12292 // L -> Reg lro=3072 swapByteOffset=0 ti=128 vIdx=0 rIdx=0 oIdx=0 buffer=6 iui=0
_ds_load_b32 v[vgprValuB_X6_I0+1], v[vgprLocalReadAddrB] offset:3076 // L -> Reg lro=768 swapByteOffset=0 ti=32 vIdx=0 rIdx=0 oIdx=0 buffer=6 iui=0
s_waitcnt lgkmcnt(10)                              // lgkmcnt=0 vmcnt=-1wait for prior local read local write old=2, new=2 newLW=0 newLR=0
v_mfma_f32_16x16x4_f32 v[0+0:3+0], v[vgprValuB_X3_I0+0+0+0], v[vgprValuA_X3_I0+0+0+0], v[0:3]
/*  mfmaIndex:13  */
/* localReadsVacancy: latencyLeft 5 */
_ds_load_b32 v[vgprValuA_X7_I0+0], v[vgprLocalReadAddrA] offset:14336 // L -> Reg lro=3584 swapByteOffset=0 ti=128 vIdx=0 rIdx=0 oIdx=0 buffer=7 iui=0
_ds_load_b32 v[vgprValuB_X7_I0+0], v[vgprLocalReadAddrB] offset:3584 // L -> Reg lro=896 swapByteOffset=0 ti=32 vIdx=0 rIdx=0 oIdx=0 buffer=7 iui=0
v_mfma_f32_16x16x4_f32 v[4+0:7+0], v[vgprValuB_X3_I0+0+0+0], v[vgprValuA_X3_I0+1+0+0], v[4:7]
/*  mfmaIndex:14  */
/* localReadsVacancy: latencyLeft 5 */
_ds_load_b32 v[vgprValuA_X7_I0+1], v[vgprLocalReadAddrA] offset:14340 // L -> Reg lro=3584 swapByteOffset=0 ti=128 vIdx=0 rIdx=0 oIdx=0 buffer=7 iui=0
_ds_load_b32 v[vgprValuB_X7_I0+1], v[vgprLocalReadAddrB] offset:3588 // L -> Reg lro=896 swapByteOffset=0 ti=32 vIdx=0 rIdx=0 oIdx=0 buffer=7 iui=0
v_mfma_f32_16x16x4_f32 v[12+0:15+0], v[vgprValuB_X3_I0+1+0+0], v[vgprValuA_X3_I0+1+0+0], v[12:15]
/*  mfmaIndex:15  */
/* localReadsVacancy: latencyLeft 5 */
_ds_load_b32 v[vgprValuA_X8_I0+0], v[vgprLocalReadAddrA] offset:16384 // L -> Reg lro=4096 swapByteOffset=0 ti=128 vIdx=0 rIdx=0 oIdx=0 buffer=8 iui=0
_ds_load_b32 v[vgprValuB_X8_I0+0], v[vgprLocalReadAddrB] offset:4096 // L -> Reg lro=1024 swapByteOffset=0 ti=32 vIdx=0 rIdx=0 oIdx=0 buffer=8 iui=0
v_mfma_f32_16x16x4_f32 v[8+0:11+0], v[vgprValuB_X3_I0+1+0+0], v[vgprValuA_X3_I0+0+0+0], v[8:11]
/* numPrefetchIter=0 */
/* dataAtIterA=2 numReadsIterA=4 skipReadsIterA=1 readsPerIterA=2 */
/* dataAtIterB=2 numReadsIterB=4 skipReadsIterB=1 readsPerIterB=2 */


/* iter 4 */

/*  grEndMfmaIndex:4, lwStartMfmaIndex:33, lwEndMfmaIndex:58  */
/*  numMfmaForLR:3, barrierMfmaIndex:60, LocalWritePerMfma:0.375 */
/*  mfmaIndex:16  */
/* localReadsVacancy: latencyLeft 5 */
_ds_load_b32 v[vgprValuA_X8_I0+1], v[vgprLocalReadAddrA] offset:16388 // L -> Reg lro=4096 swapByteOffset=0 ti=128 vIdx=0 rIdx=0 oIdx=0 buffer=8 iui=0
_ds_load_b32 v[vgprValuB_X8_I0+1], v[vgprLocalReadAddrB] offset:4100 // L -> Reg lro=1024 swapByteOffset=0 ti=32 vIdx=0 rIdx=0 oIdx=0 buffer=8 iui=0
s_waitcnt lgkmcnt(15)                              // lgkmcnt=0 vmcnt=-1wait for prior local read local write old=4, new=4 newLW=0 newLR=0
v_mfma_f32_16x16x4_f32 v[0+0:3+0], v[vgprValuB_X4_I0+0+0+0], v[vgprValuA_X4_I0+0+0+0], v[0:3]
/*  mfmaIndex:17  */
/* localReadsVacancy: latencyLeft 5 */
_ds_load_b32 v[vgprValuA_X9_I0+0], v[vgprLocalReadAddrA] offset:18432 // L -> Reg lro=4608 swapByteOffset=0 ti=128 vIdx=0 rIdx=0 oIdx=0 buffer=9 iui=0
_ds_load_b32 v[vgprValuB_X9_I0+0], v[vgprLocalReadAddrB] offset:4608 // L -> Reg lro=1152 swapByteOffset=0 ti=32 vIdx=0 rIdx=0 oIdx=0 buffer=9 iui=0
v_mfma_f32_16x16x4_f32 v[4+0:7+0], v[vgprValuB_X4_I0+0+0+0], v[vgprValuA_X4_I0+1+0+0], v[4:7]
/*  mfmaIndex:18  */
/* localReadsVacancy: latencyLeft 5 */
_ds_load_b32 v[vgprValuA_X9_I0+1], v[vgprLocalReadAddrA] offset:18436 // L -> Reg lro=4608 swapByteOffset=0 ti=128 vIdx=0 rIdx=0 oIdx=0 buffer=9 iui=0
_ds_load_b32 v[vgprValuB_X9_I0+1], v[vgprLocalReadAddrB] offset:4612 // L -> Reg lro=1152 swapByteOffset=0 ti=32 vIdx=0 rIdx=0 oIdx=0 buffer=9 iui=0
v_mfma_f32_16x16x4_f32 v[12+0:15+0], v[vgprValuB_X4_I0+1+0+0], v[vgprValuA_X4_I0+1+0+0], v[12:15]
/*  mfmaIndex:19  */
/* localReadsVacancy: latencyLeft 5 */
_ds_load_b32 v[vgprValuA_X10_I0+0], v[vgprLocalReadAddrA] offset:20480 // L -> Reg lro=5120 swapByteOffset=0 ti=128 vIdx=0 rIdx=0 oIdx=0 buffer=10 iui=0
_ds_load_b32 v[vgprValuB_X10_I0+0], v[vgprLocalReadAddrB] offset:5120 // L -> Reg lro=1280 swapByteOffset=0 ti=32 vIdx=0 rIdx=0 oIdx=0 buffer=10 iui=0
v_mfma_f32_16x16x4_f32 v[8+0:11+0], v[vgprValuB_X4_I0+1+0+0], v[vgprValuA_X4_I0+0+0+0], v[8:11]
/* numPrefetchIter=0 */
/* dataAtIterA=3 numReadsIterA=5 skipReadsIterA=1 readsPerIterA=2 */
/* dataAtIterB=3 numReadsIterB=5 skipReadsIterB=1 readsPerIterB=2 */


/* iter 5 */

/*  grEndMfmaIndex:4, lwStartMfmaIndex:33, lwEndMfmaIndex:58  */
/*  numMfmaForLR:3, barrierMfmaIndex:60, LocalWritePerMfma:0.375 */
/*  mfmaIndex:20  */
/* localReadsVacancy: latencyLeft 5 */
_ds_load_b32 v[vgprValuA_X10_I0+1], v[vgprLocalReadAddrA] offset:20484 // L -> Reg lro=5120 swapByteOffset=0 ti=128 vIdx=0 rIdx=0 oIdx=0 buffer=10 iui=0
_ds_load_b32 v[vgprValuB_X10_I0+1], v[vgprLocalReadAddrB] offset:5124 // L -> Reg lro=1280 swapByteOffset=0 ti=32 vIdx=0 rIdx=0 oIdx=0 buffer=10 iui=0
s_waitcnt lgkmcnt(15)                              // lgkmcnt=0 vmcnt=-1wait for prior local read local write old=4, new=4 newLW=0 newLR=0
v_mfma_f32_16x16x4_f32 v[0+0:3+0], v[vgprValuB_X5_I0+0+0+0], v[vgprValuA_X5_I0+0+0+0], v[0:3]
/*  mfmaIndex:21  */
/* localReadsVacancy: latencyLeft 5 */
_ds_load_b32 v[vgprValuA_X11_I0+0], v[vgprLocalReadAddrA] offset:22528 // L -> Reg lro=5632 swapByteOffset=0 ti=128 vIdx=0 rIdx=0 oIdx=0 buffer=11 iui=0
_ds_load_b32 v[vgprValuB_X11_I0+0], v[vgprLocalReadAddrB] offset:5632 // L -> Reg lro=1408 swapByteOffset=0 ti=32 vIdx=0 rIdx=0 oIdx=0 buffer=11 iui=0
v_mfma_f32_16x16x4_f32 v[4+0:7+0], v[vgprValuB_X5_I0+0+0+0], v[vgprValuA_X5_I0+1+0+0], v[4:7]
/*  mfmaIndex:22  */
/* localReadsVacancy: latencyLeft 5 */
_ds_load_b32 v[vgprValuA_X11_I0+1], v[vgprLocalReadAddrA] offset:22532 // L -> Reg lro=5632 swapByteOffset=0 ti=128 vIdx=0 rIdx=0 oIdx=0 buffer=11 iui=0
_ds_load_b32 v[vgprValuB_X11_I0+1], v[vgprLocalReadAddrB] offset:5636 // L -> Reg lro=1408 swapByteOffset=0 ti=32 vIdx=0 rIdx=0 oIdx=0 buffer=11 iui=0
v_mfma_f32_16x16x4_f32 v[12+0:15+0], v[vgprValuB_X5_I0+1+0+0], v[vgprValuA_X5_I0+1+0+0], v[12:15]
/*  mfmaIndex:23  */
/* localReadsVacancy: latencyLeft 5 */
_ds_load_b32 v[vgprValuA_X12_I0+0], v[vgprLocalReadAddrA] offset:24576 // L -> Reg lro=6144 swapByteOffset=0 ti=128 vIdx=0 rIdx=0 oIdx=0 buffer=12 iui=0
_ds_load_b32 v[vgprValuB_X12_I0+0], v[vgprLocalReadAddrB] offset:6144 // L -> Reg lro=1536 swapByteOffset=0 ti=32 vIdx=0 rIdx=0 oIdx=0 buffer=12 iui=0
v_mfma_f32_16x16x4_f32 v[8+0:11+0], v[vgprValuB_X5_I0+1+0+0], v[vgprValuA_X5_I0+0+0+0], v[8:11]
/* numPrefetchIter=0 */
/* dataAtIterA=4 numReadsIterA=6 skipReadsIterA=1 readsPerIterA=2 */
/* dataAtIterB=4 numReadsIterB=6 skipReadsIterB=1 readsPerIterB=2 */


/* iter 6 */

/*  grEndMfmaIndex:4, lwStartMfmaIndex:33, lwEndMfmaIndex:58  */
/*  numMfmaForLR:3, barrierMfmaIndex:60, LocalWritePerMfma:0.375 */
/*  mfmaIndex:24  */
/* localReadsVacancy: latencyLeft 5 */
_ds_load_b32 v[vgprValuA_X12_I0+1], v[vgprLocalReadAddrA] offset:24580 // L -> Reg lro=6144 swapByteOffset=0 ti=128 vIdx=0 rIdx=0 oIdx=0 buffer=12 iui=0
_ds_load_b32 v[vgprValuB_X12_I0+1], v[vgprLocalReadAddrB] offset:6148 // L -> Reg lro=1536 swapByteOffset=0 ti=32 vIdx=0 rIdx=0 oIdx=0 buffer=12 iui=0
s_waitcnt lgkmcnt(15)                              // lgkmcnt=0 vmcnt=-1wait for prior local read local write old=4, new=4 newLW=0 newLR=0
v_mfma_f32_16x16x4_f32 v[0+0:3+0], v[vgprValuB_X6_I0+0+0+0], v[vgprValuA_X6_I0+0+0+0], v[0:3]
/*  mfmaIndex:25  */
/* localReadsVacancy: latencyLeft 5 */
_ds_load_b32 v[vgprValuA_X13_I0+0], v[vgprLocalReadAddrA] offset:26624 // L -> Reg lro=6656 swapByteOffset=0 ti=128 vIdx=0 rIdx=0 oIdx=0 buffer=13 iui=0
_ds_load_b32 v[vgprValuB_X13_I0+0], v[vgprLocalReadAddrB] offset:6656 // L -> Reg lro=1664 swapByteOffset=0 ti=32 vIdx=0 rIdx=0 oIdx=0 buffer=13 iui=0
v_mfma_f32_16x16x4_f32 v[4+0:7+0], v[vgprValuB_X6_I0+0+0+0], v[vgprValuA_X6_I0+1+0+0], v[4:7]
/*  mfmaIndex:26  */
/* localReadsVacancy: latencyLeft 5 */
_ds_load_b32 v[vgprValuA_X13_I0+1], v[vgprLocalReadAddrA] offset:26628 // L -> Reg lro=6656 swapByteOffset=0 ti=128 vIdx=0 rIdx=0 oIdx=0 buffer=13 iui=0
_ds_load_b32 v[vgprValuB_X13_I0+1], v[vgprLocalReadAddrB] offset:6660 // L -> Reg lro=1664 swapByteOffset=0 ti=32 vIdx=0 rIdx=0 oIdx=0 buffer=13 iui=0
v_mfma_f32_16x16x4_f32 v[12+0:15+0], v[vgprValuB_X6_I0+1+0+0], v[vgprValuA_X6_I0+1+0+0], v[12:15]
/*  mfmaIndex:27  */
/* localReadsVacancy: latencyLeft 5 */
_ds_load_b32 v[vgprValuA_X14_I0+0], v[vgprLocalReadAddrA] offset:28672 // L -> Reg lro=7168 swapByteOffset=0 ti=128 vIdx=0 rIdx=0 oIdx=0 buffer=14 iui=0
_ds_load_b32 v[vgprValuB_X14_I0+0], v[vgprLocalReadAddrB] offset:7168 // L -> Reg lro=1792 swapByteOffset=0 ti=32 vIdx=0 rIdx=0 oIdx=0 buffer=14 iui=0
v_mfma_f32_16x16x4_f32 v[8+0:11+0], v[vgprValuB_X6_I0+1+0+0], v[vgprValuA_X6_I0+0+0+0], v[8:11]
/* numPrefetchIter=0 */
/* dataAtIterA=5 numReadsIterA=7 skipReadsIterA=1 readsPerIterA=2 */
/* dataAtIterB=5 numReadsIterB=7 skipReadsIterB=1 readsPerIterB=2 */


/* iter 7 */

/*  grEndMfmaIndex:4, lwStartMfmaIndex:33, lwEndMfmaIndex:58  */
/*  numMfmaForLR:3, barrierMfmaIndex:60, LocalWritePerMfma:0.375 */
/*  mfmaIndex:28  */
/* localReadsVacancy: latencyLeft 5 */
_ds_load_b32 v[vgprValuA_X14_I0+1], v[vgprLocalReadAddrA] offset:28676 // L -> Reg lro=7168 swapByteOffset=0 ti=128 vIdx=0 rIdx=0 oIdx=0 buffer=14 iui=0
_ds_load_b32 v[vgprValuB_X14_I0+1], v[vgprLocalReadAddrB] offset:7172 // L -> Reg lro=1792 swapByteOffset=0 ti=32 vIdx=0 rIdx=0 oIdx=0 buffer=14 iui=0
s_waitcnt lgkmcnt(15)                              // lgkmcnt=0 vmcnt=-1wait for prior local read local write old=4, new=4 newLW=0 newLR=0
v_mfma_f32_16x16x4_f32 v[0+0:3+0], v[vgprValuB_X7_I0+0+0+0], v[vgprValuA_X7_I0+0+0+0], v[0:3]
/*  mfmaIndex:29  */
/* localReadsVacancy: latencyLeft 5 */
_ds_load_b32 v[vgprValuA_X15_I0+0], v[vgprLocalReadAddrA] offset:30720 // L -> Reg lro=7680 swapByteOffset=0 ti=128 vIdx=0 rIdx=0 oIdx=0 buffer=15 iui=0
_ds_load_b32 v[vgprValuB_X15_I0+0], v[vgprLocalReadAddrB] offset:7680 // L -> Reg lro=1920 swapByteOffset=0 ti=32 vIdx=0 rIdx=0 oIdx=0 buffer=15 iui=0
v_mfma_f32_16x16x4_f32 v[4+0:7+0], v[vgprValuB_X7_I0+0+0+0], v[vgprValuA_X7_I0+1+0+0], v[4:7]
/*  mfmaIndex:30  */
/* localReadsVacancy: latencyLeft 5 */
_ds_load_b32 v[vgprValuA_X15_I0+1], v[vgprLocalReadAddrA] offset:30724 // L -> Reg lro=7680 swapByteOffset=0 ti=128 vIdx=0 rIdx=0 oIdx=0 buffer=15 iui=0
_ds_load_b32 v[vgprValuB_X15_I0+1], v[vgprLocalReadAddrB] offset:7684 // L -> Reg lro=1920 swapByteOffset=0 ti=32 vIdx=0 rIdx=0 oIdx=0 buffer=15 iui=0
v_mfma_f32_16x16x4_f32 v[12+0:15+0], v[vgprValuB_X7_I0+1+0+0], v[vgprValuA_X7_I0+1+0+0], v[12:15]
/*  mfmaIndex:31  */
/* localReadsVacancy: latencyLeft 5 */
v_mfma_f32_16x16x4_f32 v[8+0:11+0], v[vgprValuB_X7_I0+1+0+0], v[vgprValuA_X7_I0+0+0+0], v[8:11]
/* numPrefetchIter=0 */
/* dataAtIterA=6 numReadsIterA=8 skipReadsIterA=1 readsPerIterA=2 */
/* dataAtIterB=6 numReadsIterB=8 skipReadsIterB=1 readsPerIterB=2 */


/* iter 8 */

/*  grEndMfmaIndex:4, lwStartMfmaIndex:33, lwEndMfmaIndex:58  */
/*  numMfmaForLR:3, barrierMfmaIndex:60, LocalWritePerMfma:0.375 */
/*  mfmaIndex:32  */
/* localReadsVacancy: latencyLeft 5 */
/* 1 LDS buffer: read-sync-write */
s_waitcnt lgkmcnt(0)                               // 
s_barrier                                          // 
s_waitcnt lgkmcnt(15)                              // lgkmcnt=0 vmcnt=-1wait for prior local read local write old=4, new=4 newLW=0 newLR=0
v_mfma_f32_16x16x4_f32 v[0+0:3+0], v[vgprValuB_X8_I0+0+0+0], v[vgprValuA_X8_I0+0+0+0], v[0:3]
/*  mfmaIndex:33  */
s_setprio 3                                        // store optimization
/* sched write - iter 8 writesPerItem=1 */
s_waitcnt vmcnt(0)                                 // lgkmcnt=-1 vmcnt=0wait for global read before writing to local
_ds_store_b128 v[vgprLocalWriteAddrA], v[vgprG2LA+0:vgprG2LA+0+3] offset:0 // lwoA_0_0_0_0 = (0*LSCA) + (0*LSPA)(*MT0I+PAD) = 0
v_mfma_f32_16x16x4_f32 v[4+0:7+0], v[vgprValuB_X8_I0+0+0+0], v[vgprValuA_X8_I0+1+0+0], v[4:7]
/*  mfmaIndex:34  */
v_mfma_f32_16x16x4_f32 v[12+0:15+0], v[vgprValuB_X8_I0+1+0+0], v[vgprValuA_X8_I0+1+0+0], v[12:15]
/*  mfmaIndex:35  */
/* sched write - iter 8 writesPerItem=1 */
s_waitcnt vmcnt(0)                                 // lgkmcnt=-1 vmcnt=0wait for global read before writing to local
_ds_store_b128 v[vgprLocalWriteAddrA], v[vgprG2LA+4:vgprG2LA+4+3] offset:4096 // lwoA_0_0_1_0 = (0*LSCA) + (1*LSPA)(*MT0I+PAD) = 4096
v_mfma_f32_16x16x4_f32 v[8+0:11+0], v[vgprValuB_X8_I0+1+0+0], v[vgprValuA_X8_I0+0+0+0], v[8:11]
/* numPrefetchIter=0 */
/* dataAtIterA=7 numReadsIterA=9 skipReadsIterA=1 readsPerIterA=2 */
/* dataAtIterB=7 numReadsIterB=9 skipReadsIterB=1 readsPerIterB=2 */


/* iter 9 */

/*  grEndMfmaIndex:4, lwStartMfmaIndex:33, lwEndMfmaIndex:58  */
/*  numMfmaForLR:3, barrierMfmaIndex:60, LocalWritePerMfma:0.375 */
/*  mfmaIndex:36  */
v_mfma_f32_16x16x4_f32 v[0+0:3+0], v[vgprValuB_X9_I0+0+0+0], v[vgprValuA_X9_I0+0+0+0], v[0:3]
/*  mfmaIndex:37  */
v_mfma_f32_16x16x4_f32 v[4+0:7+0], v[vgprValuB_X9_I0+0+0+0], v[vgprValuA_X9_I0+1+0+0], v[4:7]
/*  mfmaIndex:38  */
/* sched write - iter 9 writesPerItem=1 */
s_waitcnt vmcnt(0)                                 // lgkmcnt=-1 vmcnt=0wait for global read before writing to local
_ds_store_b128 v[vgprLocalWriteAddrA], v[vgprG2LA+8:vgprG2LA+8+3] offset:8192 // lwoA_0_0_2_0 = (0*LSCA) + (2*LSPA)(*MT0I+PAD) = 8192
v_mfma_f32_16x16x4_f32 v[12+0:15+0], v[vgprValuB_X9_I0+1+0+0], v[vgprValuA_X9_I0+1+0+0], v[12:15]
/*  mfmaIndex:39  */
v_mfma_f32_16x16x4_f32 v[8+0:11+0], v[vgprValuB_X9_I0+1+0+0], v[vgprValuA_X9_I0+0+0+0], v[8:11]


/* iter 10 */

/*  grEndMfmaIndex:4, lwStartMfmaIndex:33, lwEndMfmaIndex:58  */
/*  numMfmaForLR:3, barrierMfmaIndex:60, LocalWritePerMfma:0.375 */
/*  mfmaIndex:40  */
v_mfma_f32_16x16x4_f32 v[0+0:3+0], v[vgprValuB_X10_I0+0+0+0], v[vgprValuA_X10_I0+0+0+0], v[0:3]
/*  mfmaIndex:41  */
/* sched write - iter 10 writesPerItem=1 */
s_waitcnt vmcnt(0)                                 // lgkmcnt=-1 vmcnt=0wait for global read before writing to local
_ds_store_b128 v[vgprLocalWriteAddrA], v[vgprG2LA+12:vgprG2LA+12+3] offset:12288 // lwoA_0_0_3_0 = (0*LSCA) + (3*LSPA)(*MT0I+PAD) = 12288
v_mfma_f32_16x16x4_f32 v[4+0:7+0], v[vgprValuB_X10_I0+0+0+0], v[vgprValuA_X10_I0+1+0+0], v[4:7]
/*  mfmaIndex:42  */
v_mfma_f32_16x16x4_f32 v[12+0:15+0], v[vgprValuB_X10_I0+1+0+0], v[vgprValuA_X10_I0+1+0+0], v[12:15]
/*  mfmaIndex:43  */
/* sched write - iter 10 writesPerItem=1 */
s_waitcnt vmcnt(0)                                 // lgkmcnt=-1 vmcnt=0wait for global read before writing to local
_ds_store_b128 v[vgprLocalWriteAddrA], v[vgprG2LA+16:vgprG2LA+16+3] offset:16384 // lwoA_0_0_4_0 = (0*LSCA) + (4*LSPA)(*MT0I+PAD) = 16384
v_mfma_f32_16x16x4_f32 v[8+0:11+0], v[vgprValuB_X10_I0+1+0+0], v[vgprValuA_X10_I0+0+0+0], v[8:11]


/* iter 11 */

/*  grEndMfmaIndex:4, lwStartMfmaIndex:33, lwEndMfmaIndex:58  */
/*  numMfmaForLR:3, barrierMfmaIndex:60, LocalWritePerMfma:0.375 */
/*  mfmaIndex:44  */
v_mfma_f32_16x16x4_f32 v[0+0:3+0], v[vgprValuB_X11_I0+0+0+0], v[vgprValuA_X11_I0+0+0+0], v[0:3]
/*  mfmaIndex:45  */
v_mfma_f32_16x16x4_f32 v[4+0:7+0], v[vgprValuB_X11_I0+0+0+0], v[vgprValuA_X11_I0+1+0+0], v[4:7]
/*  mfmaIndex:46  */
/* sched write - iter 11 writesPerItem=1 */
s_waitcnt vmcnt(0)                                 // lgkmcnt=-1 vmcnt=0wait for global read before writing to local
_ds_store_b128 v[vgprLocalWriteAddrA], v[vgprG2LA+20:vgprG2LA+20+3] offset:20480 // lwoA_0_0_5_0 = (0*LSCA) + (5*LSPA)(*MT0I+PAD) = 20480
v_mfma_f32_16x16x4_f32 v[12+0:15+0], v[vgprValuB_X11_I0+1+0+0], v[vgprValuA_X11_I0+1+0+0], v[12:15]
/*  mfmaIndex:47  */
v_mfma_f32_16x16x4_f32 v[8+0:11+0], v[vgprValuB_X11_I0+1+0+0], v[vgprValuA_X11_I0+0+0+0], v[8:11]


/* iter 12 */

/*  grEndMfmaIndex:4, lwStartMfmaIndex:33, lwEndMfmaIndex:58  */
/*  numMfmaForLR:3, barrierMfmaIndex:60, LocalWritePerMfma:0.375 */
/*  mfmaIndex:48  */
v_mfma_f32_16x16x4_f32 v[0+0:3+0], v[vgprValuB_X12_I0+0+0+0], v[vgprValuA_X12_I0+0+0+0], v[0:3]
/*  mfmaIndex:49  */
/* sched write - iter 12 writesPerItem=1 */
s_waitcnt vmcnt(0)                                 // lgkmcnt=-1 vmcnt=0wait for global read before writing to local
_ds_store_b128 v[vgprLocalWriteAddrA], v[vgprG2LA+24:vgprG2LA+24+3] offset:24576 // lwoA_0_0_6_0 = (0*LSCA) + (6*LSPA)(*MT0I+PAD) = 24576
v_mfma_f32_16x16x4_f32 v[4+0:7+0], v[vgprValuB_X12_I0+0+0+0], v[vgprValuA_X12_I0+1+0+0], v[4:7]
/*  mfmaIndex:50  */
v_mfma_f32_16x16x4_f32 v[12+0:15+0], v[vgprValuB_X12_I0+1+0+0], v[vgprValuA_X12_I0+1+0+0], v[12:15]
/*  mfmaIndex:51  */
/* sched write - iter 12 writesPerItem=1 */
s_waitcnt vmcnt(0)                                 // lgkmcnt=-1 vmcnt=0wait for global read before writing to local
_ds_store_b128 v[vgprLocalWriteAddrA], v[vgprG2LA+28:vgprG2LA+28+3] offset:28672 // lwoA_0_0_7_0 = (0*LSCA) + (7*LSPA)(*MT0I+PAD) = 28672
v_mfma_f32_16x16x4_f32 v[8+0:11+0], v[vgprValuB_X12_I0+1+0+0], v[vgprValuA_X12_I0+0+0+0], v[8:11]


/* iter 13 */

/*  grEndMfmaIndex:4, lwStartMfmaIndex:33, lwEndMfmaIndex:58  */
/*  numMfmaForLR:3, barrierMfmaIndex:60, LocalWritePerMfma:0.375 */
/*  mfmaIndex:52  */
v_mfma_f32_16x16x4_f32 v[0+0:3+0], v[vgprValuB_X13_I0+0+0+0], v[vgprValuA_X13_I0+0+0+0], v[0:3]
/*  mfmaIndex:53  */
v_mfma_f32_16x16x4_f32 v[4+0:7+0], v[vgprValuB_X13_I0+0+0+0], v[vgprValuA_X13_I0+1+0+0], v[4:7]
/*  mfmaIndex:54  */
/* sched write - iter 13 writesPerItem=1 */
s_waitcnt vmcnt(0)                                 // lgkmcnt=-1 vmcnt=0wait for global read before writing to local
_ds_store_b128 v[vgprLocalWriteAddrB], v[vgprG2LB+0:vgprG2LB+0+3] offset:0 // lwoB_0_0_0_0 = (0*LSCB) + (0*LSPB)(*MT1J+PAD) = 0
v_mfma_f32_16x16x4_f32 v[12+0:15+0], v[vgprValuB_X13_I0+1+0+0], v[vgprValuA_X13_I0+1+0+0], v[12:15]
/*  mfmaIndex:55  */
v_mfma_f32_16x16x4_f32 v[8+0:11+0], v[vgprValuB_X13_I0+1+0+0], v[vgprValuA_X13_I0+0+0+0], v[8:11]


/* iter 14 (reset local read pointers iteration)  (swap and reset local write pointers iteration)  (swap local read pointers iteration)  */

/*  grEndMfmaIndex:4, lwStartMfmaIndex:33, lwEndMfmaIndex:58  */
/*  numMfmaForLR:3, barrierMfmaIndex:60, LocalWritePerMfma:0.375 */
/*  mfmaIndex:56  */
v_mfma_f32_16x16x4_f32 v[0+0:3+0], v[vgprValuB_X14_I0+0+0+0], v[vgprValuA_X14_I0+0+0+0], v[0:3]
/*  mfmaIndex:57  */
/* sched write - iter 14 writesPerItem=1 */
s_waitcnt vmcnt(0)                                 // lgkmcnt=-1 vmcnt=0wait for global read before writing to local
_ds_store_b128 v[vgprLocalWriteAddrB], v[vgprG2LB+4:vgprG2LB+4+3] offset:4096 // lwoB_0_0_1_0 = (0*LSCB) + (1*LSPB)(*MT1J+PAD) = 4096
v_mfma_f32_16x16x4_f32 v[4+0:7+0], v[vgprValuB_X14_I0+0+0+0], v[vgprValuA_X14_I0+1+0+0], v[4:7]
/*  mfmaIndex:58  */

/* local write swap offsets a */

/* local write swap offsets b */
v_mfma_f32_16x16x4_f32 v[12+0:15+0], v[vgprValuB_X14_I0+1+0+0], v[vgprValuA_X14_I0+1+0+0], v[12:15]
/*  mfmaIndex:59  */

/* local read swap offsets a */

/* local read swap offsets b */

/* local read init pointers a */

/* localReadInitPointers */

/* local read init pointers b */

/* localReadInitPointers */
v_mfma_f32_16x16x4_f32 v[8+0:11+0], v[vgprValuB_X14_I0+1+0+0], v[vgprValuA_X14_I0+0+0+0], v[8:11]
s_setprio 0                                        // store optimization


/* iter 15 */

/*  grEndMfmaIndex:4, lwStartMfmaIndex:33, lwEndMfmaIndex:58  */
/*  numMfmaForLR:3, barrierMfmaIndex:60, LocalWritePerMfma:0.375 */
/*  mfmaIndex:60  */
s_waitcnt lgkmcnt(0)                               // lgkmcnt=0 vmcnt=-13wait for local write
// Skip force waitcnt0
s_barrier //
v_mfma_f32_16x16x4_f32 v[0+0:3+0], v[vgprValuB_X15_I0+0+0+0], v[vgprValuA_X15_I0+0+0+0], v[0:3]
/*  mfmaIndex:61  */
s_setprio 3                                        // store optimization
_ds_load_b32 v[vgprValuA_X0_I0+0], v[vgprLocalReadAddrA] offset:0 // L -> Reg lro=0 swapByteOffset=0 ti=128 vIdx=0 rIdx=0 oIdx=0 buffer=0 iui=0
_ds_load_b32 v[vgprValuB_X0_I0+0], v[vgprLocalReadAddrB] offset:0 // L -> Reg lro=0 swapByteOffset=0 ti=32 vIdx=0 rIdx=0 oIdx=0 buffer=0 iui=0
v_mfma_f32_16x16x4_f32 v[4+0:7+0], v[vgprValuB_X15_I0+0+0+0], v[vgprValuA_X15_I0+1+0+0], v[4:7]
/*  mfmaIndex:62  */
_ds_load_b32 v[vgprValuA_X0_I0+1], v[vgprLocalReadAddrA] offset:4 // L -> Reg lro=0 swapByteOffset=0 ti=128 vIdx=0 rIdx=0 oIdx=0 buffer=0 iui=0
_ds_load_b32 v[vgprValuB_X0_I0+1], v[vgprLocalReadAddrB] offset:4 // L -> Reg lro=0 swapByteOffset=0 ti=32 vIdx=0 rIdx=0 oIdx=0 buffer=0 iui=0
v_mfma_f32_16x16x4_f32 v[12+0:15+0], v[vgprValuB_X15_I0+1+0+0], v[vgprValuA_X15_I0+1+0+0], v[12:15]
/*  mfmaIndex:63  */
v_mfma_f32_16x16x4_f32 v[8+0:11+0], v[vgprValuB_X15_I0+1+0+0], v[vgprValuA_X15_I0+0+0+0], v[8:11]
s_setprio 0                                        // store optimization

label_0014:


/******************************************/
/* Opt. NoLoadLoop Without PAP - Begin                                      */
/******************************************/

s_cmpk_eq_u32 s[sgprBeta], 0x0                     // Beta == 0
s_cbranch_scc0 OptNLL_End_17                       // Branch if Beta is not zero

s_cmp_eq_u32 s[sgprAlpha], 1.0                     // Alpha == 1.0 ?
s_cbranch_scc0 OptNLL_End_17                       // branch if alpha != 1

s_and_b32 s32, 127, s[sgprSizeI]                   // s32 = s[sgprSizeI] % 128
s_add_u32 s33, -0x1, s[sgprNumWorkGroups0]         // 
s_cmp_ge_u32 s[sgprWorkGroup0], s33                // wg0 >= nwg0-1 ?
s_cselect_b32 s32, s32, 0                          // set rMT0
s_cmpk_gt_u32 s32, 0x0                             // rMT0 > 0
s_cbranch_scc1 OptNLL_End_17                       // jump if edges required
s_and_b32 s32, 31, s[sgprSizeJ]                    // s32 = s[sgprSizeJ] % 32
s_add_u32 s33, -0x1, s[sgprNumWorkGroups1]         // 
s_cmp_ge_u32 s[sgprWorkGroup1], s33                // wg1 >= nwg1-1
s_cselect_b32 s32, s32, 0                          // set rMT1
s_cmpk_gt_u32 s32, 0x0                             // rMT1 > 0
s_cbranch_scc1 OptNLL_End_17                       // jump if edges required

s_and_b32 s33, 63, s[sgprSizesSum+0]               // s33 = s[sgprSizesSum+0] % 64
s_cmp_eq_u32 s33, 0x0                              // numIterL == 0
s_cbranch_scc0 OptNLL_End_17                       // skip if tail loop required


	;; [unrolled: 1-line block ×3, first 2 shown]
/* iter 0 (last unrolled loop) */

/*  grEndMfmaIndex:0, lwStartMfmaIndex:58, lwEndMfmaIndex:58  */
/*  numMfmaForLR:3, barrierMfmaIndex:60, LocalWritePerMfma:0.375 */
/*  mfmaIndex:0  */
s_waitcnt lgkmcnt(0)                               // lgkmcnt=0 vmcnt=-1wait for prior local read local write old=0, new=0 newLW=0 newLR=0
v_mfma_f32_16x16x4_f32 v[0+0:3+0], v[vgprValuB_X0_I0+0+0+0], v[vgprValuA_X0_I0+0+0+0], v[0:3]
/*  mfmaIndex:1  */
_ds_load_b32 v[vgprValuA_X1_I0+0], v[vgprLocalReadAddrA] offset:2048 // L -> Reg lro=512 swapByteOffset=0 ti=128 vIdx=0 rIdx=0 oIdx=0 buffer=1 iui=0
_ds_load_b32 v[vgprValuB_X1_I0+0], v[vgprLocalReadAddrB] offset:512 // L -> Reg lro=128 swapByteOffset=0 ti=32 vIdx=0 rIdx=0 oIdx=0 buffer=1 iui=0
v_mfma_f32_16x16x4_f32 v[4+0:7+0], v[vgprValuB_X0_I0+0+0+0], v[vgprValuA_X0_I0+1+0+0], v[4:7]
/*  mfmaIndex:2  */
_ds_load_b32 v[vgprValuA_X1_I0+1], v[vgprLocalReadAddrA] offset:2052 // L -> Reg lro=512 swapByteOffset=0 ti=128 vIdx=0 rIdx=0 oIdx=0 buffer=1 iui=0
_ds_load_b32 v[vgprValuB_X1_I0+1], v[vgprLocalReadAddrB] offset:516 // L -> Reg lro=128 swapByteOffset=0 ti=32 vIdx=0 rIdx=0 oIdx=0 buffer=1 iui=0
/* localReadsVacancy: latencyLeft 1 */
v_mfma_f32_16x16x4_f32 v[12+0:15+0], v[vgprValuB_X0_I0+1+0+0], v[vgprValuA_X0_I0+1+0+0], v[12:15]
/*  mfmaIndex:3  */
/* localReadsVacancy: latencyLeft 5 */
_ds_load_b32 v[vgprValuA_X2_I0+0], v[vgprLocalReadAddrA] offset:4096 // L -> Reg lro=1024 swapByteOffset=0 ti=128 vIdx=0 rIdx=0 oIdx=0 buffer=2 iui=0
_ds_load_b32 v[vgprValuB_X2_I0+0], v[vgprLocalReadAddrB] offset:1024 // L -> Reg lro=256 swapByteOffset=0 ti=32 vIdx=0 rIdx=0 oIdx=0 buffer=2 iui=0
v_mfma_f32_16x16x4_f32 v[8+0:11+0], v[vgprValuB_X0_I0+1+0+0], v[vgprValuA_X0_I0+0+0+0], v[8:11]
/* numPrefetchIter=0 */
/* dataAtIterA=-1 numReadsIterA=1 skipReadsIterA=1 readsPerIterA=2 */
/* dataAtIterB=-1 numReadsIterB=1 skipReadsIterB=1 readsPerIterB=2 */


/* iter 1 (last unrolled loop) */

/*  grEndMfmaIndex:0, lwStartMfmaIndex:58, lwEndMfmaIndex:58  */
/*  numMfmaForLR:3, barrierMfmaIndex:60, LocalWritePerMfma:0.375 */
/*  mfmaIndex:4  */
_ds_load_b32 v[vgprValuA_X2_I0+1], v[vgprLocalReadAddrA] offset:4100 // L -> Reg lro=1024 swapByteOffset=0 ti=128 vIdx=0 rIdx=0 oIdx=0 buffer=2 iui=0
_ds_load_b32 v[vgprValuB_X2_I0+1], v[vgprLocalReadAddrB] offset:1028 // L -> Reg lro=256 swapByteOffset=0 ti=32 vIdx=0 rIdx=0 oIdx=0 buffer=2 iui=0
/* localReadsVacancy: latencyLeft 1 */
s_waitcnt lgkmcnt(4)                               // lgkmcnt=0 vmcnt=-1wait for prior local read local write old=2, new=4 newLW=0 newLR=2
v_mfma_f32_16x16x4_f32 v[0+0:3+0], v[vgprValuB_X1_I0+0+0+0], v[vgprValuA_X1_I0+0+0+0], v[0:3]
/*  mfmaIndex:5  */
/* localReadsVacancy: latencyLeft 5 */
_ds_load_b32 v[vgprValuA_X3_I0+0], v[vgprLocalReadAddrA] offset:6144 // L -> Reg lro=1536 swapByteOffset=0 ti=128 vIdx=0 rIdx=0 oIdx=0 buffer=3 iui=0
_ds_load_b32 v[vgprValuB_X3_I0+0], v[vgprLocalReadAddrB] offset:1536 // L -> Reg lro=384 swapByteOffset=0 ti=32 vIdx=0 rIdx=0 oIdx=0 buffer=3 iui=0
v_mfma_f32_16x16x4_f32 v[4+0:7+0], v[vgprValuB_X1_I0+0+0+0], v[vgprValuA_X1_I0+1+0+0], v[4:7]
/*  mfmaIndex:6  */
/* localReadsVacancy: latencyLeft 5 */
_ds_load_b32 v[vgprValuA_X3_I0+1], v[vgprLocalReadAddrA] offset:6148 // L -> Reg lro=1536 swapByteOffset=0 ti=128 vIdx=0 rIdx=0 oIdx=0 buffer=3 iui=0
_ds_load_b32 v[vgprValuB_X3_I0+1], v[vgprLocalReadAddrB] offset:1540 // L -> Reg lro=384 swapByteOffset=0 ti=32 vIdx=0 rIdx=0 oIdx=0 buffer=3 iui=0
v_mfma_f32_16x16x4_f32 v[12+0:15+0], v[vgprValuB_X1_I0+1+0+0], v[vgprValuA_X1_I0+1+0+0], v[12:15]
/*  mfmaIndex:7  */
/* localReadsVacancy: latencyLeft 5 */
_ds_load_b32 v[vgprValuA_X4_I0+0], v[vgprLocalReadAddrA] offset:8192 // L -> Reg lro=2048 swapByteOffset=0 ti=128 vIdx=0 rIdx=0 oIdx=0 buffer=4 iui=0
_ds_load_b32 v[vgprValuB_X4_I0+0], v[vgprLocalReadAddrB] offset:2048 // L -> Reg lro=512 swapByteOffset=0 ti=32 vIdx=0 rIdx=0 oIdx=0 buffer=4 iui=0
v_mfma_f32_16x16x4_f32 v[8+0:11+0], v[vgprValuB_X1_I0+1+0+0], v[vgprValuA_X1_I0+0+0+0], v[8:11]
/* numPrefetchIter=0 */
/* dataAtIterA=0 numReadsIterA=2 skipReadsIterA=1 readsPerIterA=2 */
/* dataAtIterB=0 numReadsIterB=2 skipReadsIterB=1 readsPerIterB=2 */


/* iter 2 (last unrolled loop) */

/*  grEndMfmaIndex:0, lwStartMfmaIndex:58, lwEndMfmaIndex:58  */
/*  numMfmaForLR:3, barrierMfmaIndex:60, LocalWritePerMfma:0.375 */
/*  mfmaIndex:8  */
/* localReadsVacancy: latencyLeft 5 */
_ds_load_b32 v[vgprValuA_X4_I0+1], v[vgprLocalReadAddrA] offset:8196 // L -> Reg lro=2048 swapByteOffset=0 ti=128 vIdx=0 rIdx=0 oIdx=0 buffer=4 iui=0
_ds_load_b32 v[vgprValuB_X4_I0+1], v[vgprLocalReadAddrB] offset:2052 // L -> Reg lro=512 swapByteOffset=0 ti=32 vIdx=0 rIdx=0 oIdx=0 buffer=4 iui=0
s_waitcnt lgkmcnt(8)                               // lgkmcnt=0 vmcnt=-1wait for prior local read local write old=4, new=4 newLW=0 newLR=0
v_mfma_f32_16x16x4_f32 v[0+0:3+0], v[vgprValuB_X2_I0+0+0+0], v[vgprValuA_X2_I0+0+0+0], v[0:3]
/*  mfmaIndex:9  */
/* localReadsVacancy: latencyLeft 5 */
_ds_load_b32 v[vgprValuA_X5_I0+0], v[vgprLocalReadAddrA] offset:10240 // L -> Reg lro=2560 swapByteOffset=0 ti=128 vIdx=0 rIdx=0 oIdx=0 buffer=5 iui=0
_ds_load_b32 v[vgprValuB_X5_I0+0], v[vgprLocalReadAddrB] offset:2560 // L -> Reg lro=640 swapByteOffset=0 ti=32 vIdx=0 rIdx=0 oIdx=0 buffer=5 iui=0
v_mfma_f32_16x16x4_f32 v[4+0:7+0], v[vgprValuB_X2_I0+0+0+0], v[vgprValuA_X2_I0+1+0+0], v[4:7]
/*  mfmaIndex:10  */
/* localReadsVacancy: latencyLeft 5 */
_ds_load_b32 v[vgprValuA_X5_I0+1], v[vgprLocalReadAddrA] offset:10244 // L -> Reg lro=2560 swapByteOffset=0 ti=128 vIdx=0 rIdx=0 oIdx=0 buffer=5 iui=0
_ds_load_b32 v[vgprValuB_X5_I0+1], v[vgprLocalReadAddrB] offset:2564 // L -> Reg lro=640 swapByteOffset=0 ti=32 vIdx=0 rIdx=0 oIdx=0 buffer=5 iui=0
v_mfma_f32_16x16x4_f32 v[12+0:15+0], v[vgprValuB_X2_I0+1+0+0], v[vgprValuA_X2_I0+1+0+0], v[12:15]
/*  mfmaIndex:11  */
/* localReadsVacancy: latencyLeft 5 */
_ds_load_b32 v[vgprValuA_X6_I0+0], v[vgprLocalReadAddrA] offset:12288 // L -> Reg lro=3072 swapByteOffset=0 ti=128 vIdx=0 rIdx=0 oIdx=0 buffer=6 iui=0
_ds_load_b32 v[vgprValuB_X6_I0+0], v[vgprLocalReadAddrB] offset:3072 // L -> Reg lro=768 swapByteOffset=0 ti=32 vIdx=0 rIdx=0 oIdx=0 buffer=6 iui=0
v_mfma_f32_16x16x4_f32 v[8+0:11+0], v[vgprValuB_X2_I0+1+0+0], v[vgprValuA_X2_I0+0+0+0], v[8:11]
/* numPrefetchIter=0 */
/* dataAtIterA=1 numReadsIterA=3 skipReadsIterA=1 readsPerIterA=2 */
/* dataAtIterB=1 numReadsIterB=3 skipReadsIterB=1 readsPerIterB=2 */


/* iter 3 (last unrolled loop) */

/*  grEndMfmaIndex:0, lwStartMfmaIndex:58, lwEndMfmaIndex:58  */
/*  numMfmaForLR:3, barrierMfmaIndex:60, LocalWritePerMfma:0.375 */
/*  mfmaIndex:12  */
/* localReadsVacancy: latencyLeft 5 */
_ds_load_b32 v[vgprValuA_X6_I0+1], v[vgprLocalReadAddrA] offset:12292 // L -> Reg lro=3072 swapByteOffset=0 ti=128 vIdx=0 rIdx=0 oIdx=0 buffer=6 iui=0
_ds_load_b32 v[vgprValuB_X6_I0+1], v[vgprLocalReadAddrB] offset:3076 // L -> Reg lro=768 swapByteOffset=0 ti=32 vIdx=0 rIdx=0 oIdx=0 buffer=6 iui=0
s_waitcnt lgkmcnt(10)                              // lgkmcnt=0 vmcnt=-1wait for prior local read local write old=2, new=2 newLW=0 newLR=0
v_mfma_f32_16x16x4_f32 v[0+0:3+0], v[vgprValuB_X3_I0+0+0+0], v[vgprValuA_X3_I0+0+0+0], v[0:3]
/*  mfmaIndex:13  */
/* localReadsVacancy: latencyLeft 5 */
_ds_load_b32 v[vgprValuA_X7_I0+0], v[vgprLocalReadAddrA] offset:14336 // L -> Reg lro=3584 swapByteOffset=0 ti=128 vIdx=0 rIdx=0 oIdx=0 buffer=7 iui=0
_ds_load_b32 v[vgprValuB_X7_I0+0], v[vgprLocalReadAddrB] offset:3584 // L -> Reg lro=896 swapByteOffset=0 ti=32 vIdx=0 rIdx=0 oIdx=0 buffer=7 iui=0
v_mfma_f32_16x16x4_f32 v[4+0:7+0], v[vgprValuB_X3_I0+0+0+0], v[vgprValuA_X3_I0+1+0+0], v[4:7]
/*  mfmaIndex:14  */
/* localReadsVacancy: latencyLeft 5 */
_ds_load_b32 v[vgprValuA_X7_I0+1], v[vgprLocalReadAddrA] offset:14340 // L -> Reg lro=3584 swapByteOffset=0 ti=128 vIdx=0 rIdx=0 oIdx=0 buffer=7 iui=0
_ds_load_b32 v[vgprValuB_X7_I0+1], v[vgprLocalReadAddrB] offset:3588 // L -> Reg lro=896 swapByteOffset=0 ti=32 vIdx=0 rIdx=0 oIdx=0 buffer=7 iui=0
v_mfma_f32_16x16x4_f32 v[12+0:15+0], v[vgprValuB_X3_I0+1+0+0], v[vgprValuA_X3_I0+1+0+0], v[12:15]
/*  mfmaIndex:15  */
/* localReadsVacancy: latencyLeft 5 */
_ds_load_b32 v[vgprValuA_X8_I0+0], v[vgprLocalReadAddrA] offset:16384 // L -> Reg lro=4096 swapByteOffset=0 ti=128 vIdx=0 rIdx=0 oIdx=0 buffer=8 iui=0
_ds_load_b32 v[vgprValuB_X8_I0+0], v[vgprLocalReadAddrB] offset:4096 // L -> Reg lro=1024 swapByteOffset=0 ti=32 vIdx=0 rIdx=0 oIdx=0 buffer=8 iui=0
v_mfma_f32_16x16x4_f32 v[8+0:11+0], v[vgprValuB_X3_I0+1+0+0], v[vgprValuA_X3_I0+0+0+0], v[8:11]
/* numPrefetchIter=0 */
/* dataAtIterA=2 numReadsIterA=4 skipReadsIterA=1 readsPerIterA=2 */
/* dataAtIterB=2 numReadsIterB=4 skipReadsIterB=1 readsPerIterB=2 */


/* iter 4 (last unrolled loop) */

/*  grEndMfmaIndex:0, lwStartMfmaIndex:58, lwEndMfmaIndex:58  */
/*  numMfmaForLR:3, barrierMfmaIndex:60, LocalWritePerMfma:0.375 */
/*  mfmaIndex:16  */
/* localReadsVacancy: latencyLeft 5 */
_ds_load_b32 v[vgprValuA_X8_I0+1], v[vgprLocalReadAddrA] offset:16388 // L -> Reg lro=4096 swapByteOffset=0 ti=128 vIdx=0 rIdx=0 oIdx=0 buffer=8 iui=0
_ds_load_b32 v[vgprValuB_X8_I0+1], v[vgprLocalReadAddrB] offset:4100 // L -> Reg lro=1024 swapByteOffset=0 ti=32 vIdx=0 rIdx=0 oIdx=0 buffer=8 iui=0
s_waitcnt lgkmcnt(15)                              // lgkmcnt=0 vmcnt=-1wait for prior local read local write old=4, new=4 newLW=0 newLR=0
v_mfma_f32_16x16x4_f32 v[0+0:3+0], v[vgprValuB_X4_I0+0+0+0], v[vgprValuA_X4_I0+0+0+0], v[0:3]
/*  mfmaIndex:17  */
/* localReadsVacancy: latencyLeft 5 */
_ds_load_b32 v[vgprValuA_X9_I0+0], v[vgprLocalReadAddrA] offset:18432 // L -> Reg lro=4608 swapByteOffset=0 ti=128 vIdx=0 rIdx=0 oIdx=0 buffer=9 iui=0
_ds_load_b32 v[vgprValuB_X9_I0+0], v[vgprLocalReadAddrB] offset:4608 // L -> Reg lro=1152 swapByteOffset=0 ti=32 vIdx=0 rIdx=0 oIdx=0 buffer=9 iui=0
v_mfma_f32_16x16x4_f32 v[4+0:7+0], v[vgprValuB_X4_I0+0+0+0], v[vgprValuA_X4_I0+1+0+0], v[4:7]
/*  mfmaIndex:18  */
/* localReadsVacancy: latencyLeft 5 */
_ds_load_b32 v[vgprValuA_X9_I0+1], v[vgprLocalReadAddrA] offset:18436 // L -> Reg lro=4608 swapByteOffset=0 ti=128 vIdx=0 rIdx=0 oIdx=0 buffer=9 iui=0
_ds_load_b32 v[vgprValuB_X9_I0+1], v[vgprLocalReadAddrB] offset:4612 // L -> Reg lro=1152 swapByteOffset=0 ti=32 vIdx=0 rIdx=0 oIdx=0 buffer=9 iui=0
v_mfma_f32_16x16x4_f32 v[12+0:15+0], v[vgprValuB_X4_I0+1+0+0], v[vgprValuA_X4_I0+1+0+0], v[12:15]
/*  mfmaIndex:19  */
/* localReadsVacancy: latencyLeft 5 */
_ds_load_b32 v[vgprValuA_X10_I0+0], v[vgprLocalReadAddrA] offset:20480 // L -> Reg lro=5120 swapByteOffset=0 ti=128 vIdx=0 rIdx=0 oIdx=0 buffer=10 iui=0
_ds_load_b32 v[vgprValuB_X10_I0+0], v[vgprLocalReadAddrB] offset:5120 // L -> Reg lro=1280 swapByteOffset=0 ti=32 vIdx=0 rIdx=0 oIdx=0 buffer=10 iui=0
v_mfma_f32_16x16x4_f32 v[8+0:11+0], v[vgprValuB_X4_I0+1+0+0], v[vgprValuA_X4_I0+0+0+0], v[8:11]
/* numPrefetchIter=0 */
/* dataAtIterA=3 numReadsIterA=5 skipReadsIterA=1 readsPerIterA=2 */
/* dataAtIterB=3 numReadsIterB=5 skipReadsIterB=1 readsPerIterB=2 */


/* iter 5 (last unrolled loop) */

/*  grEndMfmaIndex:0, lwStartMfmaIndex:58, lwEndMfmaIndex:58  */
/*  numMfmaForLR:3, barrierMfmaIndex:60, LocalWritePerMfma:0.375 */
/*  mfmaIndex:20  */
/* localReadsVacancy: latencyLeft 5 */
_ds_load_b32 v[vgprValuA_X10_I0+1], v[vgprLocalReadAddrA] offset:20484 // L -> Reg lro=5120 swapByteOffset=0 ti=128 vIdx=0 rIdx=0 oIdx=0 buffer=10 iui=0
_ds_load_b32 v[vgprValuB_X10_I0+1], v[vgprLocalReadAddrB] offset:5124 // L -> Reg lro=1280 swapByteOffset=0 ti=32 vIdx=0 rIdx=0 oIdx=0 buffer=10 iui=0
s_waitcnt lgkmcnt(15)                              // lgkmcnt=0 vmcnt=-1wait for prior local read local write old=4, new=4 newLW=0 newLR=0
v_mfma_f32_16x16x4_f32 v[0+0:3+0], v[vgprValuB_X5_I0+0+0+0], v[vgprValuA_X5_I0+0+0+0], v[0:3]
/*  mfmaIndex:21  */
/* localReadsVacancy: latencyLeft 5 */
_ds_load_b32 v[vgprValuA_X11_I0+0], v[vgprLocalReadAddrA] offset:22528 // L -> Reg lro=5632 swapByteOffset=0 ti=128 vIdx=0 rIdx=0 oIdx=0 buffer=11 iui=0
_ds_load_b32 v[vgprValuB_X11_I0+0], v[vgprLocalReadAddrB] offset:5632 // L -> Reg lro=1408 swapByteOffset=0 ti=32 vIdx=0 rIdx=0 oIdx=0 buffer=11 iui=0
v_mfma_f32_16x16x4_f32 v[4+0:7+0], v[vgprValuB_X5_I0+0+0+0], v[vgprValuA_X5_I0+1+0+0], v[4:7]
/*  mfmaIndex:22  */
/* localReadsVacancy: latencyLeft 5 */
_ds_load_b32 v[vgprValuA_X11_I0+1], v[vgprLocalReadAddrA] offset:22532 // L -> Reg lro=5632 swapByteOffset=0 ti=128 vIdx=0 rIdx=0 oIdx=0 buffer=11 iui=0
_ds_load_b32 v[vgprValuB_X11_I0+1], v[vgprLocalReadAddrB] offset:5636 // L -> Reg lro=1408 swapByteOffset=0 ti=32 vIdx=0 rIdx=0 oIdx=0 buffer=11 iui=0
v_mfma_f32_16x16x4_f32 v[12+0:15+0], v[vgprValuB_X5_I0+1+0+0], v[vgprValuA_X5_I0+1+0+0], v[12:15]
/*  mfmaIndex:23  */
/* localReadsVacancy: latencyLeft 5 */
_ds_load_b32 v[vgprValuA_X12_I0+0], v[vgprLocalReadAddrA] offset:24576 // L -> Reg lro=6144 swapByteOffset=0 ti=128 vIdx=0 rIdx=0 oIdx=0 buffer=12 iui=0
_ds_load_b32 v[vgprValuB_X12_I0+0], v[vgprLocalReadAddrB] offset:6144 // L -> Reg lro=1536 swapByteOffset=0 ti=32 vIdx=0 rIdx=0 oIdx=0 buffer=12 iui=0
v_mfma_f32_16x16x4_f32 v[8+0:11+0], v[vgprValuB_X5_I0+1+0+0], v[vgprValuA_X5_I0+0+0+0], v[8:11]
/* numPrefetchIter=0 */
/* dataAtIterA=4 numReadsIterA=6 skipReadsIterA=1 readsPerIterA=2 */
/* dataAtIterB=4 numReadsIterB=6 skipReadsIterB=1 readsPerIterB=2 */


/* iter 6 (last unrolled loop) */

/*  grEndMfmaIndex:0, lwStartMfmaIndex:58, lwEndMfmaIndex:58  */
/*  numMfmaForLR:3, barrierMfmaIndex:60, LocalWritePerMfma:0.375 */
/*  mfmaIndex:24  */
/* localReadsVacancy: latencyLeft 5 */
_ds_load_b32 v[vgprValuA_X12_I0+1], v[vgprLocalReadAddrA] offset:24580 // L -> Reg lro=6144 swapByteOffset=0 ti=128 vIdx=0 rIdx=0 oIdx=0 buffer=12 iui=0
_ds_load_b32 v[vgprValuB_X12_I0+1], v[vgprLocalReadAddrB] offset:6148 // L -> Reg lro=1536 swapByteOffset=0 ti=32 vIdx=0 rIdx=0 oIdx=0 buffer=12 iui=0
s_waitcnt lgkmcnt(15)                              // lgkmcnt=0 vmcnt=-1wait for prior local read local write old=4, new=4 newLW=0 newLR=0
v_mfma_f32_16x16x4_f32 v[0+0:3+0], v[vgprValuB_X6_I0+0+0+0], v[vgprValuA_X6_I0+0+0+0], v[0:3]
/*  mfmaIndex:25  */
/* localReadsVacancy: latencyLeft 5 */
_ds_load_b32 v[vgprValuA_X13_I0+0], v[vgprLocalReadAddrA] offset:26624 // L -> Reg lro=6656 swapByteOffset=0 ti=128 vIdx=0 rIdx=0 oIdx=0 buffer=13 iui=0
_ds_load_b32 v[vgprValuB_X13_I0+0], v[vgprLocalReadAddrB] offset:6656 // L -> Reg lro=1664 swapByteOffset=0 ti=32 vIdx=0 rIdx=0 oIdx=0 buffer=13 iui=0
v_mfma_f32_16x16x4_f32 v[4+0:7+0], v[vgprValuB_X6_I0+0+0+0], v[vgprValuA_X6_I0+1+0+0], v[4:7]
/*  mfmaIndex:26  */
/* localReadsVacancy: latencyLeft 5 */
_ds_load_b32 v[vgprValuA_X13_I0+1], v[vgprLocalReadAddrA] offset:26628 // L -> Reg lro=6656 swapByteOffset=0 ti=128 vIdx=0 rIdx=0 oIdx=0 buffer=13 iui=0
_ds_load_b32 v[vgprValuB_X13_I0+1], v[vgprLocalReadAddrB] offset:6660 // L -> Reg lro=1664 swapByteOffset=0 ti=32 vIdx=0 rIdx=0 oIdx=0 buffer=13 iui=0
v_mfma_f32_16x16x4_f32 v[12+0:15+0], v[vgprValuB_X6_I0+1+0+0], v[vgprValuA_X6_I0+1+0+0], v[12:15]
/*  mfmaIndex:27  */
/* localReadsVacancy: latencyLeft 5 */
_ds_load_b32 v[vgprValuA_X14_I0+0], v[vgprLocalReadAddrA] offset:28672 // L -> Reg lro=7168 swapByteOffset=0 ti=128 vIdx=0 rIdx=0 oIdx=0 buffer=14 iui=0
_ds_load_b32 v[vgprValuB_X14_I0+0], v[vgprLocalReadAddrB] offset:7168 // L -> Reg lro=1792 swapByteOffset=0 ti=32 vIdx=0 rIdx=0 oIdx=0 buffer=14 iui=0
v_mfma_f32_16x16x4_f32 v[8+0:11+0], v[vgprValuB_X6_I0+1+0+0], v[vgprValuA_X6_I0+0+0+0], v[8:11]
/* numPrefetchIter=0 */
/* dataAtIterA=5 numReadsIterA=7 skipReadsIterA=1 readsPerIterA=2 */
/* dataAtIterB=5 numReadsIterB=7 skipReadsIterB=1 readsPerIterB=2 */


/* iter 7 (last unrolled loop) */

/*  grEndMfmaIndex:0, lwStartMfmaIndex:58, lwEndMfmaIndex:58  */
/*  numMfmaForLR:3, barrierMfmaIndex:60, LocalWritePerMfma:0.375 */
/*  mfmaIndex:28  */
/* localReadsVacancy: latencyLeft 5 */
_ds_load_b32 v[vgprValuA_X14_I0+1], v[vgprLocalReadAddrA] offset:28676 // L -> Reg lro=7168 swapByteOffset=0 ti=128 vIdx=0 rIdx=0 oIdx=0 buffer=14 iui=0
_ds_load_b32 v[vgprValuB_X14_I0+1], v[vgprLocalReadAddrB] offset:7172 // L -> Reg lro=1792 swapByteOffset=0 ti=32 vIdx=0 rIdx=0 oIdx=0 buffer=14 iui=0
s_waitcnt lgkmcnt(15)                              // lgkmcnt=0 vmcnt=-1wait for prior local read local write old=4, new=4 newLW=0 newLR=0
v_mfma_f32_16x16x4_f32 v[0+0:3+0], v[vgprValuB_X7_I0+0+0+0], v[vgprValuA_X7_I0+0+0+0], v[0:3]
/*  mfmaIndex:29  */
/* localReadsVacancy: latencyLeft 5 */
_ds_load_b32 v[vgprValuA_X15_I0+0], v[vgprLocalReadAddrA] offset:30720 // L -> Reg lro=7680 swapByteOffset=0 ti=128 vIdx=0 rIdx=0 oIdx=0 buffer=15 iui=0
_ds_load_b32 v[vgprValuB_X15_I0+0], v[vgprLocalReadAddrB] offset:7680 // L -> Reg lro=1920 swapByteOffset=0 ti=32 vIdx=0 rIdx=0 oIdx=0 buffer=15 iui=0
v_mfma_f32_16x16x4_f32 v[4+0:7+0], v[vgprValuB_X7_I0+0+0+0], v[vgprValuA_X7_I0+1+0+0], v[4:7]
/*  mfmaIndex:30  */
/* localReadsVacancy: latencyLeft 5 */
_ds_load_b32 v[vgprValuA_X15_I0+1], v[vgprLocalReadAddrA] offset:30724 // L -> Reg lro=7680 swapByteOffset=0 ti=128 vIdx=0 rIdx=0 oIdx=0 buffer=15 iui=0
_ds_load_b32 v[vgprValuB_X15_I0+1], v[vgprLocalReadAddrB] offset:7684 // L -> Reg lro=1920 swapByteOffset=0 ti=32 vIdx=0 rIdx=0 oIdx=0 buffer=15 iui=0
v_mfma_f32_16x16x4_f32 v[12+0:15+0], v[vgprValuB_X7_I0+1+0+0], v[vgprValuA_X7_I0+1+0+0], v[12:15]
/*  mfmaIndex:31  */
/* localReadsVacancy: latencyLeft 5 */
v_mfma_f32_16x16x4_f32 v[8+0:11+0], v[vgprValuB_X7_I0+1+0+0], v[vgprValuA_X7_I0+0+0+0], v[8:11]
/* numPrefetchIter=0 */
/* dataAtIterA=6 numReadsIterA=8 skipReadsIterA=1 readsPerIterA=2 */
/* dataAtIterB=6 numReadsIterB=8 skipReadsIterB=1 readsPerIterB=2 */


/* iter 8 (last unrolled loop) */

/*  grEndMfmaIndex:0, lwStartMfmaIndex:58, lwEndMfmaIndex:58  */
/*  numMfmaForLR:3, barrierMfmaIndex:60, LocalWritePerMfma:0.375 */
/*  mfmaIndex:32  */
/* localReadsVacancy: latencyLeft 5 */
s_waitcnt lgkmcnt(15)                              // lgkmcnt=0 vmcnt=-1wait for prior local read local write old=4, new=4 newLW=0 newLR=0
v_mfma_f32_16x16x4_f32 v[0+0:3+0], v[vgprValuB_X8_I0+0+0+0], v[vgprValuA_X8_I0+0+0+0], v[0:3]
/*  mfmaIndex:33  */
/* localReadsVacancy: latencyLeft 5 */
v_mfma_f32_16x16x4_f32 v[4+0:7+0], v[vgprValuB_X8_I0+0+0+0], v[vgprValuA_X8_I0+1+0+0], v[4:7]
/*  mfmaIndex:34  */
/* localReadsVacancy: latencyLeft 5 */
	;; [unrolled: 3-line block ×3, first 2 shown]
v_mfma_f32_16x16x4_f32 v[8+0:11+0], v[vgprValuB_X8_I0+1+0+0], v[vgprValuA_X8_I0+0+0+0], v[8:11]
/* numPrefetchIter=0 */
/* dataAtIterA=7 numReadsIterA=9 skipReadsIterA=1 readsPerIterA=2 */
/* dataAtIterB=7 numReadsIterB=9 skipReadsIterB=1 readsPerIterB=2 */


/* iter 9 (last unrolled loop) */

/*  grEndMfmaIndex:0, lwStartMfmaIndex:58, lwEndMfmaIndex:58  */
/*  numMfmaForLR:3, barrierMfmaIndex:60, LocalWritePerMfma:0.375 */
/*  mfmaIndex:36  */
/* localReadsVacancy: latencyLeft 5 */
s_waitcnt lgkmcnt(15)                              // lgkmcnt=0 vmcnt=-1wait for prior local read local write old=4, new=4 newLW=0 newLR=0
v_mfma_f32_16x16x4_f32 v[0+0:3+0], v[vgprValuB_X9_I0+0+0+0], v[vgprValuA_X9_I0+0+0+0], v[0:3]
/*  mfmaIndex:37  */
/* localReadsVacancy: latencyLeft 5 */
v_mfma_f32_16x16x4_f32 v[4+0:7+0], v[vgprValuB_X9_I0+0+0+0], v[vgprValuA_X9_I0+1+0+0], v[4:7]
/*  mfmaIndex:38  */
/* localReadsVacancy: latencyLeft 5 */
	;; [unrolled: 3-line block ×3, first 2 shown]
v_mfma_f32_16x16x4_f32 v[8+0:11+0], v[vgprValuB_X9_I0+1+0+0], v[vgprValuA_X9_I0+0+0+0], v[8:11]
/* numPrefetchIter=0 */
/* dataAtIterA=8 numReadsIterA=10 skipReadsIterA=1 readsPerIterA=2 */
/* dataAtIterB=8 numReadsIterB=10 skipReadsIterB=1 readsPerIterB=2 */


/* iter 10 (last unrolled loop) */

/*  grEndMfmaIndex:0, lwStartMfmaIndex:58, lwEndMfmaIndex:58  */
/*  numMfmaForLR:3, barrierMfmaIndex:60, LocalWritePerMfma:0.375 */
/*  mfmaIndex:40  */
/* localReadsVacancy: latencyLeft 5 */
s_waitcnt lgkmcnt(15)                              // lgkmcnt=0 vmcnt=-1wait for prior local read local write old=4, new=4 newLW=0 newLR=0
v_mfma_f32_16x16x4_f32 v[0+0:3+0], v[vgprValuB_X10_I0+0+0+0], v[vgprValuA_X10_I0+0+0+0], v[0:3]
/*  mfmaIndex:41  */
/* localReadsVacancy: latencyLeft 5 */
v_mfma_f32_16x16x4_f32 v[4+0:7+0], v[vgprValuB_X10_I0+0+0+0], v[vgprValuA_X10_I0+1+0+0], v[4:7]
/*  mfmaIndex:42  */
/* localReadsVacancy: latencyLeft 5 */
	;; [unrolled: 3-line block ×3, first 2 shown]
v_mfma_f32_16x16x4_f32 v[8+0:11+0], v[vgprValuB_X10_I0+1+0+0], v[vgprValuA_X10_I0+0+0+0], v[8:11]
/* numPrefetchIter=0 */
/* dataAtIterA=9 numReadsIterA=11 skipReadsIterA=1 readsPerIterA=2 */
/* dataAtIterB=9 numReadsIterB=11 skipReadsIterB=1 readsPerIterB=2 */


/* iter 11 (last unrolled loop) */

/*  grEndMfmaIndex:0, lwStartMfmaIndex:58, lwEndMfmaIndex:58  */
/*  numMfmaForLR:3, barrierMfmaIndex:60, LocalWritePerMfma:0.375 */
/*  mfmaIndex:44  */
/* localReadsVacancy: latencyLeft 5 */
s_waitcnt lgkmcnt(15)                              // lgkmcnt=0 vmcnt=-1wait for prior local read local write old=4, new=4 newLW=0 newLR=0
v_mfma_f32_16x16x4_f32 v[0+0:3+0], v[vgprValuB_X11_I0+0+0+0], v[vgprValuA_X11_I0+0+0+0], v[0:3]
/*  mfmaIndex:45  */
/* localReadsVacancy: latencyLeft 5 */
v_mfma_f32_16x16x4_f32 v[4+0:7+0], v[vgprValuB_X11_I0+0+0+0], v[vgprValuA_X11_I0+1+0+0], v[4:7]
/*  mfmaIndex:46  */
/* localReadsVacancy: latencyLeft 5 */
	;; [unrolled: 3-line block ×3, first 2 shown]
v_mfma_f32_16x16x4_f32 v[8+0:11+0], v[vgprValuB_X11_I0+1+0+0], v[vgprValuA_X11_I0+0+0+0], v[8:11]
/* numPrefetchIter=0 */
/* dataAtIterA=10 numReadsIterA=12 skipReadsIterA=1 readsPerIterA=2 */
/* dataAtIterB=10 numReadsIterB=12 skipReadsIterB=1 readsPerIterB=2 */


/* iter 12 (last unrolled loop) */

/*  grEndMfmaIndex:0, lwStartMfmaIndex:58, lwEndMfmaIndex:58  */
/*  numMfmaForLR:3, barrierMfmaIndex:60, LocalWritePerMfma:0.375 */
/*  mfmaIndex:48  */
/* localReadsVacancy: latencyLeft 5 */
s_waitcnt lgkmcnt(12)                              // lgkmcnt=0 vmcnt=-1wait for prior local read local write old=4, new=4 newLW=0 newLR=0
v_mfma_f32_16x16x4_f32 v[0+0:3+0], v[vgprValuB_X12_I0+0+0+0], v[vgprValuA_X12_I0+0+0+0], v[0:3]
/*  mfmaIndex:49  */
/* localReadsVacancy: latencyLeft 5 */
v_mfma_f32_16x16x4_f32 v[4+0:7+0], v[vgprValuB_X12_I0+0+0+0], v[vgprValuA_X12_I0+1+0+0], v[4:7]
/*  mfmaIndex:50  */
/* localReadsVacancy: latencyLeft 5 */
	;; [unrolled: 3-line block ×3, first 2 shown]
v_mfma_f32_16x16x4_f32 v[8+0:11+0], v[vgprValuB_X12_I0+1+0+0], v[vgprValuA_X12_I0+0+0+0], v[8:11]
/* numPrefetchIter=0 */
/* dataAtIterA=11 numReadsIterA=13 skipReadsIterA=1 readsPerIterA=2 */
/* dataAtIterB=11 numReadsIterB=13 skipReadsIterB=1 readsPerIterB=2 */


/* iter 13 (last unrolled loop) */

/*  grEndMfmaIndex:0, lwStartMfmaIndex:58, lwEndMfmaIndex:58  */
/*  numMfmaForLR:3, barrierMfmaIndex:60, LocalWritePerMfma:0.375 */
/*  mfmaIndex:52  */
/* localReadsVacancy: latencyLeft 5 */
s_waitcnt lgkmcnt(8)                               // lgkmcnt=0 vmcnt=-1wait for prior local read local write old=4, new=4 newLW=0 newLR=0
v_mfma_f32_16x16x4_f32 v[0+0:3+0], v[vgprValuB_X13_I0+0+0+0], v[vgprValuA_X13_I0+0+0+0], v[0:3]
/*  mfmaIndex:53  */
/* localReadsVacancy: latencyLeft 5 */
v_mfma_f32_16x16x4_f32 v[4+0:7+0], v[vgprValuB_X13_I0+0+0+0], v[vgprValuA_X13_I0+1+0+0], v[4:7]
/*  mfmaIndex:54  */
/* localReadsVacancy: latencyLeft 5 */
	;; [unrolled: 3-line block ×3, first 2 shown]
v_mfma_f32_16x16x4_f32 v[8+0:11+0], v[vgprValuB_X13_I0+1+0+0], v[vgprValuA_X13_I0+0+0+0], v[8:11]
/* numPrefetchIter=0 */
/* dataAtIterA=12 numReadsIterA=14 skipReadsIterA=1 readsPerIterA=2 */
/* dataAtIterB=12 numReadsIterB=14 skipReadsIterB=1 readsPerIterB=2 */


/* iter 14 (last unrolled loop) */

/*  grEndMfmaIndex:0, lwStartMfmaIndex:58, lwEndMfmaIndex:58  */
/*  numMfmaForLR:3, barrierMfmaIndex:60, LocalWritePerMfma:0.375 */
/*  mfmaIndex:56  */
/* localReadsVacancy: latencyLeft 5 */
s_waitcnt lgkmcnt(4)                               // lgkmcnt=0 vmcnt=-1wait for prior local read local write old=4, new=4 newLW=0 newLR=0
v_mfma_f32_16x16x4_f32 v[0+0:3+0], v[vgprValuB_X14_I0+0+0+0], v[vgprValuA_X14_I0+0+0+0], v[0:3]
/*  mfmaIndex:57  */
/* localReadsVacancy: latencyLeft 5 */
/* 1 LDS buffer: read-sync-write */
s_waitcnt lgkmcnt(0)                               // 
s_barrier                                          // 
v_mfma_f32_16x16x4_f32 v[4+0:7+0], v[vgprValuB_X14_I0+0+0+0], v[vgprValuA_X14_I0+1+0+0], v[4:7]
/*  mfmaIndex:58  */
/* localReadsVacancy: latencyLeft 5 */
s_setprio 3                                        // store optimization
v_mfma_f32_16x16x4_f32 v[12+0:15+0], v[vgprValuB_X14_I0+1+0+0], v[vgprValuA_X14_I0+1+0+0], v[12:15]
/*  mfmaIndex:59  */
v_mfma_f32_16x16x4_f32 v[8+0:11+0], v[vgprValuB_X14_I0+1+0+0], v[vgprValuA_X14_I0+0+0+0], v[8:11]
s_setprio 0                                        // store optimization
/* numPrefetchIter=0 */
/* dataAtIterA=13 numReadsIterA=15 skipReadsIterA=1 readsPerIterA=2 */
/* dataAtIterB=13 numReadsIterB=15 skipReadsIterB=1 readsPerIterB=2 */


/* iter 15 (last unrolled loop) */

/*  grEndMfmaIndex:0, lwStartMfmaIndex:58, lwEndMfmaIndex:58  */
/*  numMfmaForLR:3, barrierMfmaIndex:60, LocalWritePerMfma:0.375 */
/*  mfmaIndex:60  */
v_mfma_f32_16x16x4_f32 v[0+0:3+0], v[vgprValuB_X15_I0+0+0+0], v[vgprValuA_X15_I0+0+0+0], v[0:3]
/*  mfmaIndex:61  */
s_setprio 3                                        // store optimization
v_mfma_f32_16x16x4_f32 v[4+0:7+0], v[vgprValuB_X15_I0+0+0+0], v[vgprValuA_X15_I0+1+0+0], v[4:7]
/*  mfmaIndex:62  */
v_mfma_f32_16x16x4_f32 v[12+0:15+0], v[vgprValuB_X15_I0+1+0+0], v[vgprValuA_X15_I0+1+0+0], v[12:15]
/*  mfmaIndex:63  */
v_mfma_f32_16x16x4_f32 v[8+0:11+0], v[vgprValuB_X15_I0+1+0+0], v[vgprValuA_X15_I0+0+0+0], v[8:11]

/* Stores for OptNLL */
Summation_End_OptNLL_18:
s_setprio 0                                        // optimization store
/* endSummation: add vgpr [16...132) to pool */

/* Mapping of Acc register -> C Vgpr register */

/* Multiply MI out register with Alpha -> C Vgpr register */
/* computeStoreVgprs */
v_lshrrev_b32 v20, 6, v[vgprSerial]                // v20 = v[vgprSerial] / 64
v_and_b32 v17, 63, v[vgprSerial]                   // v17 = v[vgprSerial] % 64
v_lshrrev_b32 v17, 4, v17                          // v17 = v17 / 16
v_lshlrev_b32 v17, 0x2, v17                        // thread0 * continuous_output
v_lshrrev_b32 v21, 2, v20                          // v21 = v20 / 4
v_mul_lo_u32 v21, 0x10, v21                        // wave coordination offset 1
_v_add_lshl_u32 v17, v21, v17, 1                   // coordination 1 = vwb *(wave_id1 + tid1)
v_mul_lo_u32 v18, v17, s[sgprStrideC1J]            //  offset 1
v_mul_lo_u32 v19, v17, s[sgprStrideD1J]            //  offset 1
v_and_b32 v21, 3, v20                              // v21 = v20 % 4
v_mul_lo_u32 v21, 0x10, v21                        // wave coordination offset 0
v_and_b32 v16, 15, v[vgprSerial]                   // v16 = v[vgprSerial] % 16
_v_add_lshl_u32 v16, v21, v16, 1                   // coordination 0 = vwa *(wave_id0 + tid0)
s_mul_i32 s31, 128, s[sgprWorkGroup0]              // wgp0 * MT0
_v_add_u32 v16, s31, v16                           // coord 0 = (tid0/MI_m)*4 + waveG0*MIB_m + MT0*SG0
s_mul_i32 s31, 32, s[sgprWorkGroup1]               // wgp1 * MT1
_v_add_u32 v17, s31, v17                           // coord 1 = (tid0%MI_m) + waveG1*MIB_n + MT1*SG1
GW_B0_E0_21:

/* edge=0, allocate 2 sgpr. perBatchTmpS=2 perBatchMaskS=0 perElementMaskS=0 elementsPerBatch=114 */
/* optSingleColVgpr=1 optSharedColVgpr=0 optSGPRUsage=BufferLoad_Mask optSrdIncForRow=1 */
s_sleep 3 // optimization: sync and wait
s_barrier

/******************************************/
/* Global Write Batch #0 (d1,d0,vc1,vc0) = */
/*    (0,0,0,0:vw2); (0,0,1,0:vw2); (0,0,2,0:vw2); (0,0,3,0:vw2); (0,0,4,0:vw2); (0,0,5,0:vw2); (0,0,6,0:vw2); (0,0,7,0:vw2) */
/******************************************/

/* calc coords, apply mask, and issue loads (if necessary) */
/* (d1,vc1,d0,vc0)=(0,0,0,0) */
/* (d1,vc1,d0,vc0)=(0,1,0,0) */
	;; [unrolled: 1-line block ×8, first 2 shown]
_v_add_lshl_u32 v22, v19, v16, 0x2                 // optSingleColVgpr scaleToBpe: sharedAddrVgpr <- cinRowPtr + coord0, scaled by BPE. BSHERE:coord0=16, coord0Vgpr=16
v_mov_b32 v[vgprValuC+24], v[vgprValuC+0] // copy MI out reg to vreg[0]
v_mov_b32 v[vgprValuC+25], v[vgprValuC+4] // copy MI out reg to vreg[1]
	;; [unrolled: 1-line block ×16, first 2 shown]

/* apply mask, calc new C and issue writes */
_buffer_store_b64 v[24:25], v22, s[sgprSrdD:sgprSrdD+3], 0, offen, offset:0,  sc0 sc1 // store D
s_lshl_b32  s32, s[sgprStrideD1J], 2               // incToNextRow: Scale by BPE
s_add_u32  s[sgprSrdD+0], s[sgprSrdD+0], s32       // incToNextRow: gra SRD += inc(lower)
s_addc_u32  s[sgprSrdD+1], s[sgprSrdD+1], 0        // incToNextRow: gra SRD += inc(upper)
_buffer_store_b64 v[26:27], v22, s[sgprSrdD:sgprSrdD+3], 0, offen, offset:0,  sc0 sc1 // store D
s_lshl_b32  s32, s[sgprStrideD1J], 2               // incToNextRow: Scale by BPE
s_add_u32  s[sgprSrdD+0], s[sgprSrdD+0], s32       // incToNextRow: gra SRD += inc(lower)
s_addc_u32  s[sgprSrdD+1], s[sgprSrdD+1], 0        // incToNextRow: gra SRD += inc(upper)
	;; [unrolled: 4-line block ×7, first 2 shown]
_buffer_store_b64 v[38:39], v22, s[sgprSrdD:sgprSrdD+3], 0, offen, offset:0,  sc0 sc1 // store D
s_nop 0                                            // 1 wait state required when next inst writes vgprs held by previous dwordx4 store inst
s_branch label_GW_End_23                           // jump to end
label_GW_End_23:

s_endpgm                                           // Kernel End
OptNLL_End_17:


/******************************************/
/* Ord. NoLoadLoop - Begin                                      */
/******************************************/




/* iter 0 (last unrolled loop) */

/*  grEndMfmaIndex:0, lwStartMfmaIndex:58, lwEndMfmaIndex:58  */
/*  numMfmaForLR:3, barrierMfmaIndex:60, LocalWritePerMfma:0.375 */
/*  mfmaIndex:0  */
s_waitcnt lgkmcnt(0)                               // lgkmcnt=0 vmcnt=-1wait for prior local read local write old=0, new=0 newLW=0 newLR=0
v_mfma_f32_16x16x4_f32 v[0+0:3+0], v[vgprValuB_X0_I0+0+0+0], v[vgprValuA_X0_I0+0+0+0], v[0:3]
/*  mfmaIndex:1  */
_ds_load_b32 v[vgprValuA_X1_I0+0], v[vgprLocalReadAddrA] offset:2048 // L -> Reg lro=512 swapByteOffset=0 ti=128 vIdx=0 rIdx=0 oIdx=0 buffer=1 iui=0
_ds_load_b32 v[vgprValuB_X1_I0+0], v[vgprLocalReadAddrB] offset:512 // L -> Reg lro=128 swapByteOffset=0 ti=32 vIdx=0 rIdx=0 oIdx=0 buffer=1 iui=0
v_mfma_f32_16x16x4_f32 v[4+0:7+0], v[vgprValuB_X0_I0+0+0+0], v[vgprValuA_X0_I0+1+0+0], v[4:7]
/*  mfmaIndex:2  */
_ds_load_b32 v[vgprValuA_X1_I0+1], v[vgprLocalReadAddrA] offset:2052 // L -> Reg lro=512 swapByteOffset=0 ti=128 vIdx=0 rIdx=0 oIdx=0 buffer=1 iui=0
_ds_load_b32 v[vgprValuB_X1_I0+1], v[vgprLocalReadAddrB] offset:516 // L -> Reg lro=128 swapByteOffset=0 ti=32 vIdx=0 rIdx=0 oIdx=0 buffer=1 iui=0
/* localReadsVacancy: latencyLeft 1 */
v_mfma_f32_16x16x4_f32 v[12+0:15+0], v[vgprValuB_X0_I0+1+0+0], v[vgprValuA_X0_I0+1+0+0], v[12:15]
/*  mfmaIndex:3  */
/* localReadsVacancy: latencyLeft 5 */
_ds_load_b32 v[vgprValuA_X2_I0+0], v[vgprLocalReadAddrA] offset:4096 // L -> Reg lro=1024 swapByteOffset=0 ti=128 vIdx=0 rIdx=0 oIdx=0 buffer=2 iui=0
_ds_load_b32 v[vgprValuB_X2_I0+0], v[vgprLocalReadAddrB] offset:1024 // L -> Reg lro=256 swapByteOffset=0 ti=32 vIdx=0 rIdx=0 oIdx=0 buffer=2 iui=0
v_mfma_f32_16x16x4_f32 v[8+0:11+0], v[vgprValuB_X0_I0+1+0+0], v[vgprValuA_X0_I0+0+0+0], v[8:11]
/* numPrefetchIter=0 */
/* dataAtIterA=-1 numReadsIterA=1 skipReadsIterA=1 readsPerIterA=2 */
/* dataAtIterB=-1 numReadsIterB=1 skipReadsIterB=1 readsPerIterB=2 */


/* iter 1 (last unrolled loop) */

/*  grEndMfmaIndex:0, lwStartMfmaIndex:58, lwEndMfmaIndex:58  */
/*  numMfmaForLR:3, barrierMfmaIndex:60, LocalWritePerMfma:0.375 */
/*  mfmaIndex:4  */
_ds_load_b32 v[vgprValuA_X2_I0+1], v[vgprLocalReadAddrA] offset:4100 // L -> Reg lro=1024 swapByteOffset=0 ti=128 vIdx=0 rIdx=0 oIdx=0 buffer=2 iui=0
_ds_load_b32 v[vgprValuB_X2_I0+1], v[vgprLocalReadAddrB] offset:1028 // L -> Reg lro=256 swapByteOffset=0 ti=32 vIdx=0 rIdx=0 oIdx=0 buffer=2 iui=0
/* localReadsVacancy: latencyLeft 1 */
s_waitcnt lgkmcnt(4)                               // lgkmcnt=0 vmcnt=-1wait for prior local read local write old=2, new=4 newLW=0 newLR=2
v_mfma_f32_16x16x4_f32 v[0+0:3+0], v[vgprValuB_X1_I0+0+0+0], v[vgprValuA_X1_I0+0+0+0], v[0:3]
/*  mfmaIndex:5  */
/* localReadsVacancy: latencyLeft 5 */
_ds_load_b32 v[vgprValuA_X3_I0+0], v[vgprLocalReadAddrA] offset:6144 // L -> Reg lro=1536 swapByteOffset=0 ti=128 vIdx=0 rIdx=0 oIdx=0 buffer=3 iui=0
_ds_load_b32 v[vgprValuB_X3_I0+0], v[vgprLocalReadAddrB] offset:1536 // L -> Reg lro=384 swapByteOffset=0 ti=32 vIdx=0 rIdx=0 oIdx=0 buffer=3 iui=0
v_mfma_f32_16x16x4_f32 v[4+0:7+0], v[vgprValuB_X1_I0+0+0+0], v[vgprValuA_X1_I0+1+0+0], v[4:7]
/*  mfmaIndex:6  */
/* localReadsVacancy: latencyLeft 5 */
_ds_load_b32 v[vgprValuA_X3_I0+1], v[vgprLocalReadAddrA] offset:6148 // L -> Reg lro=1536 swapByteOffset=0 ti=128 vIdx=0 rIdx=0 oIdx=0 buffer=3 iui=0
_ds_load_b32 v[vgprValuB_X3_I0+1], v[vgprLocalReadAddrB] offset:1540 // L -> Reg lro=384 swapByteOffset=0 ti=32 vIdx=0 rIdx=0 oIdx=0 buffer=3 iui=0
v_mfma_f32_16x16x4_f32 v[12+0:15+0], v[vgprValuB_X1_I0+1+0+0], v[vgprValuA_X1_I0+1+0+0], v[12:15]
/*  mfmaIndex:7  */
/* localReadsVacancy: latencyLeft 5 */
_ds_load_b32 v[vgprValuA_X4_I0+0], v[vgprLocalReadAddrA] offset:8192 // L -> Reg lro=2048 swapByteOffset=0 ti=128 vIdx=0 rIdx=0 oIdx=0 buffer=4 iui=0
_ds_load_b32 v[vgprValuB_X4_I0+0], v[vgprLocalReadAddrB] offset:2048 // L -> Reg lro=512 swapByteOffset=0 ti=32 vIdx=0 rIdx=0 oIdx=0 buffer=4 iui=0
v_mfma_f32_16x16x4_f32 v[8+0:11+0], v[vgprValuB_X1_I0+1+0+0], v[vgprValuA_X1_I0+0+0+0], v[8:11]
/* numPrefetchIter=0 */
/* dataAtIterA=0 numReadsIterA=2 skipReadsIterA=1 readsPerIterA=2 */
/* dataAtIterB=0 numReadsIterB=2 skipReadsIterB=1 readsPerIterB=2 */


/* iter 2 (last unrolled loop) */

/*  grEndMfmaIndex:0, lwStartMfmaIndex:58, lwEndMfmaIndex:58  */
/*  numMfmaForLR:3, barrierMfmaIndex:60, LocalWritePerMfma:0.375 */
/*  mfmaIndex:8  */
/* localReadsVacancy: latencyLeft 5 */
_ds_load_b32 v[vgprValuA_X4_I0+1], v[vgprLocalReadAddrA] offset:8196 // L -> Reg lro=2048 swapByteOffset=0 ti=128 vIdx=0 rIdx=0 oIdx=0 buffer=4 iui=0
_ds_load_b32 v[vgprValuB_X4_I0+1], v[vgprLocalReadAddrB] offset:2052 // L -> Reg lro=512 swapByteOffset=0 ti=32 vIdx=0 rIdx=0 oIdx=0 buffer=4 iui=0
s_waitcnt lgkmcnt(8)                               // lgkmcnt=0 vmcnt=-1wait for prior local read local write old=4, new=4 newLW=0 newLR=0
v_mfma_f32_16x16x4_f32 v[0+0:3+0], v[vgprValuB_X2_I0+0+0+0], v[vgprValuA_X2_I0+0+0+0], v[0:3]
/*  mfmaIndex:9  */
/* localReadsVacancy: latencyLeft 5 */
_ds_load_b32 v[vgprValuA_X5_I0+0], v[vgprLocalReadAddrA] offset:10240 // L -> Reg lro=2560 swapByteOffset=0 ti=128 vIdx=0 rIdx=0 oIdx=0 buffer=5 iui=0
_ds_load_b32 v[vgprValuB_X5_I0+0], v[vgprLocalReadAddrB] offset:2560 // L -> Reg lro=640 swapByteOffset=0 ti=32 vIdx=0 rIdx=0 oIdx=0 buffer=5 iui=0
v_mfma_f32_16x16x4_f32 v[4+0:7+0], v[vgprValuB_X2_I0+0+0+0], v[vgprValuA_X2_I0+1+0+0], v[4:7]
/*  mfmaIndex:10  */
/* localReadsVacancy: latencyLeft 5 */
_ds_load_b32 v[vgprValuA_X5_I0+1], v[vgprLocalReadAddrA] offset:10244 // L -> Reg lro=2560 swapByteOffset=0 ti=128 vIdx=0 rIdx=0 oIdx=0 buffer=5 iui=0
_ds_load_b32 v[vgprValuB_X5_I0+1], v[vgprLocalReadAddrB] offset:2564 // L -> Reg lro=640 swapByteOffset=0 ti=32 vIdx=0 rIdx=0 oIdx=0 buffer=5 iui=0
v_mfma_f32_16x16x4_f32 v[12+0:15+0], v[vgprValuB_X2_I0+1+0+0], v[vgprValuA_X2_I0+1+0+0], v[12:15]
/*  mfmaIndex:11  */
/* localReadsVacancy: latencyLeft 5 */
_ds_load_b32 v[vgprValuA_X6_I0+0], v[vgprLocalReadAddrA] offset:12288 // L -> Reg lro=3072 swapByteOffset=0 ti=128 vIdx=0 rIdx=0 oIdx=0 buffer=6 iui=0
_ds_load_b32 v[vgprValuB_X6_I0+0], v[vgprLocalReadAddrB] offset:3072 // L -> Reg lro=768 swapByteOffset=0 ti=32 vIdx=0 rIdx=0 oIdx=0 buffer=6 iui=0
v_mfma_f32_16x16x4_f32 v[8+0:11+0], v[vgprValuB_X2_I0+1+0+0], v[vgprValuA_X2_I0+0+0+0], v[8:11]
/* numPrefetchIter=0 */
/* dataAtIterA=1 numReadsIterA=3 skipReadsIterA=1 readsPerIterA=2 */
/* dataAtIterB=1 numReadsIterB=3 skipReadsIterB=1 readsPerIterB=2 */


/* iter 3 (last unrolled loop) */

/*  grEndMfmaIndex:0, lwStartMfmaIndex:58, lwEndMfmaIndex:58  */
/*  numMfmaForLR:3, barrierMfmaIndex:60, LocalWritePerMfma:0.375 */
/*  mfmaIndex:12  */
/* localReadsVacancy: latencyLeft 5 */
_ds_load_b32 v[vgprValuA_X6_I0+1], v[vgprLocalReadAddrA] offset:12292 // L -> Reg lro=3072 swapByteOffset=0 ti=128 vIdx=0 rIdx=0 oIdx=0 buffer=6 iui=0
_ds_load_b32 v[vgprValuB_X6_I0+1], v[vgprLocalReadAddrB] offset:3076 // L -> Reg lro=768 swapByteOffset=0 ti=32 vIdx=0 rIdx=0 oIdx=0 buffer=6 iui=0
s_waitcnt lgkmcnt(10)                              // lgkmcnt=0 vmcnt=-1wait for prior local read local write old=2, new=2 newLW=0 newLR=0
v_mfma_f32_16x16x4_f32 v[0+0:3+0], v[vgprValuB_X3_I0+0+0+0], v[vgprValuA_X3_I0+0+0+0], v[0:3]
/*  mfmaIndex:13  */
/* localReadsVacancy: latencyLeft 5 */
_ds_load_b32 v[vgprValuA_X7_I0+0], v[vgprLocalReadAddrA] offset:14336 // L -> Reg lro=3584 swapByteOffset=0 ti=128 vIdx=0 rIdx=0 oIdx=0 buffer=7 iui=0
_ds_load_b32 v[vgprValuB_X7_I0+0], v[vgprLocalReadAddrB] offset:3584 // L -> Reg lro=896 swapByteOffset=0 ti=32 vIdx=0 rIdx=0 oIdx=0 buffer=7 iui=0
v_mfma_f32_16x16x4_f32 v[4+0:7+0], v[vgprValuB_X3_I0+0+0+0], v[vgprValuA_X3_I0+1+0+0], v[4:7]
/*  mfmaIndex:14  */
/* localReadsVacancy: latencyLeft 5 */
_ds_load_b32 v[vgprValuA_X7_I0+1], v[vgprLocalReadAddrA] offset:14340 // L -> Reg lro=3584 swapByteOffset=0 ti=128 vIdx=0 rIdx=0 oIdx=0 buffer=7 iui=0
_ds_load_b32 v[vgprValuB_X7_I0+1], v[vgprLocalReadAddrB] offset:3588 // L -> Reg lro=896 swapByteOffset=0 ti=32 vIdx=0 rIdx=0 oIdx=0 buffer=7 iui=0
v_mfma_f32_16x16x4_f32 v[12+0:15+0], v[vgprValuB_X3_I0+1+0+0], v[vgprValuA_X3_I0+1+0+0], v[12:15]
/*  mfmaIndex:15  */
/* localReadsVacancy: latencyLeft 5 */
_ds_load_b32 v[vgprValuA_X8_I0+0], v[vgprLocalReadAddrA] offset:16384 // L -> Reg lro=4096 swapByteOffset=0 ti=128 vIdx=0 rIdx=0 oIdx=0 buffer=8 iui=0
_ds_load_b32 v[vgprValuB_X8_I0+0], v[vgprLocalReadAddrB] offset:4096 // L -> Reg lro=1024 swapByteOffset=0 ti=32 vIdx=0 rIdx=0 oIdx=0 buffer=8 iui=0
v_mfma_f32_16x16x4_f32 v[8+0:11+0], v[vgprValuB_X3_I0+1+0+0], v[vgprValuA_X3_I0+0+0+0], v[8:11]
/* numPrefetchIter=0 */
/* dataAtIterA=2 numReadsIterA=4 skipReadsIterA=1 readsPerIterA=2 */
/* dataAtIterB=2 numReadsIterB=4 skipReadsIterB=1 readsPerIterB=2 */


/* iter 4 (last unrolled loop) */

/*  grEndMfmaIndex:0, lwStartMfmaIndex:58, lwEndMfmaIndex:58  */
/*  numMfmaForLR:3, barrierMfmaIndex:60, LocalWritePerMfma:0.375 */
/*  mfmaIndex:16  */
/* localReadsVacancy: latencyLeft 5 */
_ds_load_b32 v[vgprValuA_X8_I0+1], v[vgprLocalReadAddrA] offset:16388 // L -> Reg lro=4096 swapByteOffset=0 ti=128 vIdx=0 rIdx=0 oIdx=0 buffer=8 iui=0
_ds_load_b32 v[vgprValuB_X8_I0+1], v[vgprLocalReadAddrB] offset:4100 // L -> Reg lro=1024 swapByteOffset=0 ti=32 vIdx=0 rIdx=0 oIdx=0 buffer=8 iui=0
s_waitcnt lgkmcnt(15)                              // lgkmcnt=0 vmcnt=-1wait for prior local read local write old=4, new=4 newLW=0 newLR=0
v_mfma_f32_16x16x4_f32 v[0+0:3+0], v[vgprValuB_X4_I0+0+0+0], v[vgprValuA_X4_I0+0+0+0], v[0:3]
/*  mfmaIndex:17  */
/* localReadsVacancy: latencyLeft 5 */
_ds_load_b32 v[vgprValuA_X9_I0+0], v[vgprLocalReadAddrA] offset:18432 // L -> Reg lro=4608 swapByteOffset=0 ti=128 vIdx=0 rIdx=0 oIdx=0 buffer=9 iui=0
_ds_load_b32 v[vgprValuB_X9_I0+0], v[vgprLocalReadAddrB] offset:4608 // L -> Reg lro=1152 swapByteOffset=0 ti=32 vIdx=0 rIdx=0 oIdx=0 buffer=9 iui=0
v_mfma_f32_16x16x4_f32 v[4+0:7+0], v[vgprValuB_X4_I0+0+0+0], v[vgprValuA_X4_I0+1+0+0], v[4:7]
/*  mfmaIndex:18  */
/* localReadsVacancy: latencyLeft 5 */
_ds_load_b32 v[vgprValuA_X9_I0+1], v[vgprLocalReadAddrA] offset:18436 // L -> Reg lro=4608 swapByteOffset=0 ti=128 vIdx=0 rIdx=0 oIdx=0 buffer=9 iui=0
_ds_load_b32 v[vgprValuB_X9_I0+1], v[vgprLocalReadAddrB] offset:4612 // L -> Reg lro=1152 swapByteOffset=0 ti=32 vIdx=0 rIdx=0 oIdx=0 buffer=9 iui=0
v_mfma_f32_16x16x4_f32 v[12+0:15+0], v[vgprValuB_X4_I0+1+0+0], v[vgprValuA_X4_I0+1+0+0], v[12:15]
/*  mfmaIndex:19  */
/* localReadsVacancy: latencyLeft 5 */
_ds_load_b32 v[vgprValuA_X10_I0+0], v[vgprLocalReadAddrA] offset:20480 // L -> Reg lro=5120 swapByteOffset=0 ti=128 vIdx=0 rIdx=0 oIdx=0 buffer=10 iui=0
_ds_load_b32 v[vgprValuB_X10_I0+0], v[vgprLocalReadAddrB] offset:5120 // L -> Reg lro=1280 swapByteOffset=0 ti=32 vIdx=0 rIdx=0 oIdx=0 buffer=10 iui=0
v_mfma_f32_16x16x4_f32 v[8+0:11+0], v[vgprValuB_X4_I0+1+0+0], v[vgprValuA_X4_I0+0+0+0], v[8:11]
/* numPrefetchIter=0 */
/* dataAtIterA=3 numReadsIterA=5 skipReadsIterA=1 readsPerIterA=2 */
/* dataAtIterB=3 numReadsIterB=5 skipReadsIterB=1 readsPerIterB=2 */


/* iter 5 (last unrolled loop) */

/*  grEndMfmaIndex:0, lwStartMfmaIndex:58, lwEndMfmaIndex:58  */
/*  numMfmaForLR:3, barrierMfmaIndex:60, LocalWritePerMfma:0.375 */
/*  mfmaIndex:20  */
/* localReadsVacancy: latencyLeft 5 */
_ds_load_b32 v[vgprValuA_X10_I0+1], v[vgprLocalReadAddrA] offset:20484 // L -> Reg lro=5120 swapByteOffset=0 ti=128 vIdx=0 rIdx=0 oIdx=0 buffer=10 iui=0
_ds_load_b32 v[vgprValuB_X10_I0+1], v[vgprLocalReadAddrB] offset:5124 // L -> Reg lro=1280 swapByteOffset=0 ti=32 vIdx=0 rIdx=0 oIdx=0 buffer=10 iui=0
s_waitcnt lgkmcnt(15)                              // lgkmcnt=0 vmcnt=-1wait for prior local read local write old=4, new=4 newLW=0 newLR=0
v_mfma_f32_16x16x4_f32 v[0+0:3+0], v[vgprValuB_X5_I0+0+0+0], v[vgprValuA_X5_I0+0+0+0], v[0:3]
/*  mfmaIndex:21  */
/* localReadsVacancy: latencyLeft 5 */
_ds_load_b32 v[vgprValuA_X11_I0+0], v[vgprLocalReadAddrA] offset:22528 // L -> Reg lro=5632 swapByteOffset=0 ti=128 vIdx=0 rIdx=0 oIdx=0 buffer=11 iui=0
_ds_load_b32 v[vgprValuB_X11_I0+0], v[vgprLocalReadAddrB] offset:5632 // L -> Reg lro=1408 swapByteOffset=0 ti=32 vIdx=0 rIdx=0 oIdx=0 buffer=11 iui=0
v_mfma_f32_16x16x4_f32 v[4+0:7+0], v[vgprValuB_X5_I0+0+0+0], v[vgprValuA_X5_I0+1+0+0], v[4:7]
/*  mfmaIndex:22  */
/* localReadsVacancy: latencyLeft 5 */
_ds_load_b32 v[vgprValuA_X11_I0+1], v[vgprLocalReadAddrA] offset:22532 // L -> Reg lro=5632 swapByteOffset=0 ti=128 vIdx=0 rIdx=0 oIdx=0 buffer=11 iui=0
_ds_load_b32 v[vgprValuB_X11_I0+1], v[vgprLocalReadAddrB] offset:5636 // L -> Reg lro=1408 swapByteOffset=0 ti=32 vIdx=0 rIdx=0 oIdx=0 buffer=11 iui=0
v_mfma_f32_16x16x4_f32 v[12+0:15+0], v[vgprValuB_X5_I0+1+0+0], v[vgprValuA_X5_I0+1+0+0], v[12:15]
/*  mfmaIndex:23  */
/* localReadsVacancy: latencyLeft 5 */
_ds_load_b32 v[vgprValuA_X12_I0+0], v[vgprLocalReadAddrA] offset:24576 // L -> Reg lro=6144 swapByteOffset=0 ti=128 vIdx=0 rIdx=0 oIdx=0 buffer=12 iui=0
_ds_load_b32 v[vgprValuB_X12_I0+0], v[vgprLocalReadAddrB] offset:6144 // L -> Reg lro=1536 swapByteOffset=0 ti=32 vIdx=0 rIdx=0 oIdx=0 buffer=12 iui=0
v_mfma_f32_16x16x4_f32 v[8+0:11+0], v[vgprValuB_X5_I0+1+0+0], v[vgprValuA_X5_I0+0+0+0], v[8:11]
/* numPrefetchIter=0 */
/* dataAtIterA=4 numReadsIterA=6 skipReadsIterA=1 readsPerIterA=2 */
/* dataAtIterB=4 numReadsIterB=6 skipReadsIterB=1 readsPerIterB=2 */


/* iter 6 (last unrolled loop) */

/*  grEndMfmaIndex:0, lwStartMfmaIndex:58, lwEndMfmaIndex:58  */
/*  numMfmaForLR:3, barrierMfmaIndex:60, LocalWritePerMfma:0.375 */
/*  mfmaIndex:24  */
/* localReadsVacancy: latencyLeft 5 */
_ds_load_b32 v[vgprValuA_X12_I0+1], v[vgprLocalReadAddrA] offset:24580 // L -> Reg lro=6144 swapByteOffset=0 ti=128 vIdx=0 rIdx=0 oIdx=0 buffer=12 iui=0
_ds_load_b32 v[vgprValuB_X12_I0+1], v[vgprLocalReadAddrB] offset:6148 // L -> Reg lro=1536 swapByteOffset=0 ti=32 vIdx=0 rIdx=0 oIdx=0 buffer=12 iui=0
s_waitcnt lgkmcnt(15)                              // lgkmcnt=0 vmcnt=-1wait for prior local read local write old=4, new=4 newLW=0 newLR=0
v_mfma_f32_16x16x4_f32 v[0+0:3+0], v[vgprValuB_X6_I0+0+0+0], v[vgprValuA_X6_I0+0+0+0], v[0:3]
/*  mfmaIndex:25  */
/* localReadsVacancy: latencyLeft 5 */
_ds_load_b32 v[vgprValuA_X13_I0+0], v[vgprLocalReadAddrA] offset:26624 // L -> Reg lro=6656 swapByteOffset=0 ti=128 vIdx=0 rIdx=0 oIdx=0 buffer=13 iui=0
_ds_load_b32 v[vgprValuB_X13_I0+0], v[vgprLocalReadAddrB] offset:6656 // L -> Reg lro=1664 swapByteOffset=0 ti=32 vIdx=0 rIdx=0 oIdx=0 buffer=13 iui=0
v_mfma_f32_16x16x4_f32 v[4+0:7+0], v[vgprValuB_X6_I0+0+0+0], v[vgprValuA_X6_I0+1+0+0], v[4:7]
/*  mfmaIndex:26  */
/* localReadsVacancy: latencyLeft 5 */
_ds_load_b32 v[vgprValuA_X13_I0+1], v[vgprLocalReadAddrA] offset:26628 // L -> Reg lro=6656 swapByteOffset=0 ti=128 vIdx=0 rIdx=0 oIdx=0 buffer=13 iui=0
_ds_load_b32 v[vgprValuB_X13_I0+1], v[vgprLocalReadAddrB] offset:6660 // L -> Reg lro=1664 swapByteOffset=0 ti=32 vIdx=0 rIdx=0 oIdx=0 buffer=13 iui=0
v_mfma_f32_16x16x4_f32 v[12+0:15+0], v[vgprValuB_X6_I0+1+0+0], v[vgprValuA_X6_I0+1+0+0], v[12:15]
/*  mfmaIndex:27  */
/* localReadsVacancy: latencyLeft 5 */
_ds_load_b32 v[vgprValuA_X14_I0+0], v[vgprLocalReadAddrA] offset:28672 // L -> Reg lro=7168 swapByteOffset=0 ti=128 vIdx=0 rIdx=0 oIdx=0 buffer=14 iui=0
_ds_load_b32 v[vgprValuB_X14_I0+0], v[vgprLocalReadAddrB] offset:7168 // L -> Reg lro=1792 swapByteOffset=0 ti=32 vIdx=0 rIdx=0 oIdx=0 buffer=14 iui=0
v_mfma_f32_16x16x4_f32 v[8+0:11+0], v[vgprValuB_X6_I0+1+0+0], v[vgprValuA_X6_I0+0+0+0], v[8:11]
/* numPrefetchIter=0 */
/* dataAtIterA=5 numReadsIterA=7 skipReadsIterA=1 readsPerIterA=2 */
/* dataAtIterB=5 numReadsIterB=7 skipReadsIterB=1 readsPerIterB=2 */


/* iter 7 (last unrolled loop) */

/*  grEndMfmaIndex:0, lwStartMfmaIndex:58, lwEndMfmaIndex:58  */
/*  numMfmaForLR:3, barrierMfmaIndex:60, LocalWritePerMfma:0.375 */
/*  mfmaIndex:28  */
/* localReadsVacancy: latencyLeft 5 */
_ds_load_b32 v[vgprValuA_X14_I0+1], v[vgprLocalReadAddrA] offset:28676 // L -> Reg lro=7168 swapByteOffset=0 ti=128 vIdx=0 rIdx=0 oIdx=0 buffer=14 iui=0
_ds_load_b32 v[vgprValuB_X14_I0+1], v[vgprLocalReadAddrB] offset:7172 // L -> Reg lro=1792 swapByteOffset=0 ti=32 vIdx=0 rIdx=0 oIdx=0 buffer=14 iui=0
s_waitcnt lgkmcnt(15)                              // lgkmcnt=0 vmcnt=-1wait for prior local read local write old=4, new=4 newLW=0 newLR=0
v_mfma_f32_16x16x4_f32 v[0+0:3+0], v[vgprValuB_X7_I0+0+0+0], v[vgprValuA_X7_I0+0+0+0], v[0:3]
/*  mfmaIndex:29  */
/* localReadsVacancy: latencyLeft 5 */
_ds_load_b32 v[vgprValuA_X15_I0+0], v[vgprLocalReadAddrA] offset:30720 // L -> Reg lro=7680 swapByteOffset=0 ti=128 vIdx=0 rIdx=0 oIdx=0 buffer=15 iui=0
_ds_load_b32 v[vgprValuB_X15_I0+0], v[vgprLocalReadAddrB] offset:7680 // L -> Reg lro=1920 swapByteOffset=0 ti=32 vIdx=0 rIdx=0 oIdx=0 buffer=15 iui=0
v_mfma_f32_16x16x4_f32 v[4+0:7+0], v[vgprValuB_X7_I0+0+0+0], v[vgprValuA_X7_I0+1+0+0], v[4:7]
/*  mfmaIndex:30  */
/* localReadsVacancy: latencyLeft 5 */
_ds_load_b32 v[vgprValuA_X15_I0+1], v[vgprLocalReadAddrA] offset:30724 // L -> Reg lro=7680 swapByteOffset=0 ti=128 vIdx=0 rIdx=0 oIdx=0 buffer=15 iui=0
_ds_load_b32 v[vgprValuB_X15_I0+1], v[vgprLocalReadAddrB] offset:7684 // L -> Reg lro=1920 swapByteOffset=0 ti=32 vIdx=0 rIdx=0 oIdx=0 buffer=15 iui=0
v_mfma_f32_16x16x4_f32 v[12+0:15+0], v[vgprValuB_X7_I0+1+0+0], v[vgprValuA_X7_I0+1+0+0], v[12:15]
/*  mfmaIndex:31  */
/* localReadsVacancy: latencyLeft 5 */
v_mfma_f32_16x16x4_f32 v[8+0:11+0], v[vgprValuB_X7_I0+1+0+0], v[vgprValuA_X7_I0+0+0+0], v[8:11]
/* numPrefetchIter=0 */
/* dataAtIterA=6 numReadsIterA=8 skipReadsIterA=1 readsPerIterA=2 */
/* dataAtIterB=6 numReadsIterB=8 skipReadsIterB=1 readsPerIterB=2 */


/* iter 8 (last unrolled loop) */

/*  grEndMfmaIndex:0, lwStartMfmaIndex:58, lwEndMfmaIndex:58  */
/*  numMfmaForLR:3, barrierMfmaIndex:60, LocalWritePerMfma:0.375 */
/*  mfmaIndex:32  */
/* localReadsVacancy: latencyLeft 5 */
s_waitcnt lgkmcnt(15)                              // lgkmcnt=0 vmcnt=-1wait for prior local read local write old=4, new=4 newLW=0 newLR=0
v_mfma_f32_16x16x4_f32 v[0+0:3+0], v[vgprValuB_X8_I0+0+0+0], v[vgprValuA_X8_I0+0+0+0], v[0:3]
/*  mfmaIndex:33  */
/* localReadsVacancy: latencyLeft 5 */
v_mfma_f32_16x16x4_f32 v[4+0:7+0], v[vgprValuB_X8_I0+0+0+0], v[vgprValuA_X8_I0+1+0+0], v[4:7]
/*  mfmaIndex:34  */
/* localReadsVacancy: latencyLeft 5 */
	;; [unrolled: 3-line block ×3, first 2 shown]
v_mfma_f32_16x16x4_f32 v[8+0:11+0], v[vgprValuB_X8_I0+1+0+0], v[vgprValuA_X8_I0+0+0+0], v[8:11]
/* numPrefetchIter=0 */
/* dataAtIterA=7 numReadsIterA=9 skipReadsIterA=1 readsPerIterA=2 */
/* dataAtIterB=7 numReadsIterB=9 skipReadsIterB=1 readsPerIterB=2 */


/* iter 9 (last unrolled loop) */

/*  grEndMfmaIndex:0, lwStartMfmaIndex:58, lwEndMfmaIndex:58  */
/*  numMfmaForLR:3, barrierMfmaIndex:60, LocalWritePerMfma:0.375 */
/*  mfmaIndex:36  */
/* localReadsVacancy: latencyLeft 5 */
s_waitcnt lgkmcnt(15)                              // lgkmcnt=0 vmcnt=-1wait for prior local read local write old=4, new=4 newLW=0 newLR=0
v_mfma_f32_16x16x4_f32 v[0+0:3+0], v[vgprValuB_X9_I0+0+0+0], v[vgprValuA_X9_I0+0+0+0], v[0:3]
/*  mfmaIndex:37  */
/* localReadsVacancy: latencyLeft 5 */
v_mfma_f32_16x16x4_f32 v[4+0:7+0], v[vgprValuB_X9_I0+0+0+0], v[vgprValuA_X9_I0+1+0+0], v[4:7]
/*  mfmaIndex:38  */
/* localReadsVacancy: latencyLeft 5 */
	;; [unrolled: 3-line block ×3, first 2 shown]
v_mfma_f32_16x16x4_f32 v[8+0:11+0], v[vgprValuB_X9_I0+1+0+0], v[vgprValuA_X9_I0+0+0+0], v[8:11]
/* numPrefetchIter=0 */
/* dataAtIterA=8 numReadsIterA=10 skipReadsIterA=1 readsPerIterA=2 */
/* dataAtIterB=8 numReadsIterB=10 skipReadsIterB=1 readsPerIterB=2 */


/* iter 10 (last unrolled loop) */

/*  grEndMfmaIndex:0, lwStartMfmaIndex:58, lwEndMfmaIndex:58  */
/*  numMfmaForLR:3, barrierMfmaIndex:60, LocalWritePerMfma:0.375 */
/*  mfmaIndex:40  */
/* localReadsVacancy: latencyLeft 5 */
s_waitcnt lgkmcnt(15)                              // lgkmcnt=0 vmcnt=-1wait for prior local read local write old=4, new=4 newLW=0 newLR=0
v_mfma_f32_16x16x4_f32 v[0+0:3+0], v[vgprValuB_X10_I0+0+0+0], v[vgprValuA_X10_I0+0+0+0], v[0:3]
/*  mfmaIndex:41  */
/* localReadsVacancy: latencyLeft 5 */
v_mfma_f32_16x16x4_f32 v[4+0:7+0], v[vgprValuB_X10_I0+0+0+0], v[vgprValuA_X10_I0+1+0+0], v[4:7]
/*  mfmaIndex:42  */
/* localReadsVacancy: latencyLeft 5 */
	;; [unrolled: 3-line block ×3, first 2 shown]
v_mfma_f32_16x16x4_f32 v[8+0:11+0], v[vgprValuB_X10_I0+1+0+0], v[vgprValuA_X10_I0+0+0+0], v[8:11]
/* numPrefetchIter=0 */
/* dataAtIterA=9 numReadsIterA=11 skipReadsIterA=1 readsPerIterA=2 */
/* dataAtIterB=9 numReadsIterB=11 skipReadsIterB=1 readsPerIterB=2 */


/* iter 11 (last unrolled loop) */

/*  grEndMfmaIndex:0, lwStartMfmaIndex:58, lwEndMfmaIndex:58  */
/*  numMfmaForLR:3, barrierMfmaIndex:60, LocalWritePerMfma:0.375 */
/*  mfmaIndex:44  */
/* localReadsVacancy: latencyLeft 5 */
s_waitcnt lgkmcnt(15)                              // lgkmcnt=0 vmcnt=-1wait for prior local read local write old=4, new=4 newLW=0 newLR=0
v_mfma_f32_16x16x4_f32 v[0+0:3+0], v[vgprValuB_X11_I0+0+0+0], v[vgprValuA_X11_I0+0+0+0], v[0:3]
/*  mfmaIndex:45  */
/* localReadsVacancy: latencyLeft 5 */
v_mfma_f32_16x16x4_f32 v[4+0:7+0], v[vgprValuB_X11_I0+0+0+0], v[vgprValuA_X11_I0+1+0+0], v[4:7]
/*  mfmaIndex:46  */
/* localReadsVacancy: latencyLeft 5 */
	;; [unrolled: 3-line block ×3, first 2 shown]
v_mfma_f32_16x16x4_f32 v[8+0:11+0], v[vgprValuB_X11_I0+1+0+0], v[vgprValuA_X11_I0+0+0+0], v[8:11]
/* numPrefetchIter=0 */
/* dataAtIterA=10 numReadsIterA=12 skipReadsIterA=1 readsPerIterA=2 */
/* dataAtIterB=10 numReadsIterB=12 skipReadsIterB=1 readsPerIterB=2 */


/* iter 12 (last unrolled loop) */

/*  grEndMfmaIndex:0, lwStartMfmaIndex:58, lwEndMfmaIndex:58  */
/*  numMfmaForLR:3, barrierMfmaIndex:60, LocalWritePerMfma:0.375 */
/*  mfmaIndex:48  */
/* localReadsVacancy: latencyLeft 5 */
s_waitcnt lgkmcnt(12)                              // lgkmcnt=0 vmcnt=-1wait for prior local read local write old=4, new=4 newLW=0 newLR=0
v_mfma_f32_16x16x4_f32 v[0+0:3+0], v[vgprValuB_X12_I0+0+0+0], v[vgprValuA_X12_I0+0+0+0], v[0:3]
/*  mfmaIndex:49  */
/* localReadsVacancy: latencyLeft 5 */
v_mfma_f32_16x16x4_f32 v[4+0:7+0], v[vgprValuB_X12_I0+0+0+0], v[vgprValuA_X12_I0+1+0+0], v[4:7]
/*  mfmaIndex:50  */
/* localReadsVacancy: latencyLeft 5 */
	;; [unrolled: 3-line block ×3, first 2 shown]
v_mfma_f32_16x16x4_f32 v[8+0:11+0], v[vgprValuB_X12_I0+1+0+0], v[vgprValuA_X12_I0+0+0+0], v[8:11]
/* numPrefetchIter=0 */
/* dataAtIterA=11 numReadsIterA=13 skipReadsIterA=1 readsPerIterA=2 */
/* dataAtIterB=11 numReadsIterB=13 skipReadsIterB=1 readsPerIterB=2 */


/* iter 13 (last unrolled loop) */

/*  grEndMfmaIndex:0, lwStartMfmaIndex:58, lwEndMfmaIndex:58  */
/*  numMfmaForLR:3, barrierMfmaIndex:60, LocalWritePerMfma:0.375 */
/*  mfmaIndex:52  */
/* localReadsVacancy: latencyLeft 5 */
s_waitcnt lgkmcnt(8)                               // lgkmcnt=0 vmcnt=-1wait for prior local read local write old=4, new=4 newLW=0 newLR=0
v_mfma_f32_16x16x4_f32 v[0+0:3+0], v[vgprValuB_X13_I0+0+0+0], v[vgprValuA_X13_I0+0+0+0], v[0:3]
/*  mfmaIndex:53  */
/* localReadsVacancy: latencyLeft 5 */
v_mfma_f32_16x16x4_f32 v[4+0:7+0], v[vgprValuB_X13_I0+0+0+0], v[vgprValuA_X13_I0+1+0+0], v[4:7]
/*  mfmaIndex:54  */
/* localReadsVacancy: latencyLeft 5 */
	;; [unrolled: 3-line block ×3, first 2 shown]
v_mfma_f32_16x16x4_f32 v[8+0:11+0], v[vgprValuB_X13_I0+1+0+0], v[vgprValuA_X13_I0+0+0+0], v[8:11]
/* numPrefetchIter=0 */
/* dataAtIterA=12 numReadsIterA=14 skipReadsIterA=1 readsPerIterA=2 */
/* dataAtIterB=12 numReadsIterB=14 skipReadsIterB=1 readsPerIterB=2 */


/* iter 14 (last unrolled loop) */

/*  grEndMfmaIndex:0, lwStartMfmaIndex:58, lwEndMfmaIndex:58  */
/*  numMfmaForLR:3, barrierMfmaIndex:60, LocalWritePerMfma:0.375 */
/*  mfmaIndex:56  */
/* localReadsVacancy: latencyLeft 5 */
s_waitcnt lgkmcnt(4)                               // lgkmcnt=0 vmcnt=-1wait for prior local read local write old=4, new=4 newLW=0 newLR=0
v_mfma_f32_16x16x4_f32 v[0+0:3+0], v[vgprValuB_X14_I0+0+0+0], v[vgprValuA_X14_I0+0+0+0], v[0:3]
/*  mfmaIndex:57  */
/* localReadsVacancy: latencyLeft 5 */
/* 1 LDS buffer: read-sync-write */
s_waitcnt lgkmcnt(0)                               // 
s_barrier                                          // 
v_mfma_f32_16x16x4_f32 v[4+0:7+0], v[vgprValuB_X14_I0+0+0+0], v[vgprValuA_X14_I0+1+0+0], v[4:7]
/*  mfmaIndex:58  */
/* localReadsVacancy: latencyLeft 5 */
s_setprio 3                                        // store optimization
v_mfma_f32_16x16x4_f32 v[12+0:15+0], v[vgprValuB_X14_I0+1+0+0], v[vgprValuA_X14_I0+1+0+0], v[12:15]
/*  mfmaIndex:59  */
v_mfma_f32_16x16x4_f32 v[8+0:11+0], v[vgprValuB_X14_I0+1+0+0], v[vgprValuA_X14_I0+0+0+0], v[8:11]
s_setprio 0                                        // store optimization
/* numPrefetchIter=0 */
/* dataAtIterA=13 numReadsIterA=15 skipReadsIterA=1 readsPerIterA=2 */
/* dataAtIterB=13 numReadsIterB=15 skipReadsIterB=1 readsPerIterB=2 */


/* iter 15 (last unrolled loop) */

/*  grEndMfmaIndex:0, lwStartMfmaIndex:58, lwEndMfmaIndex:58  */
/*  numMfmaForLR:3, barrierMfmaIndex:60, LocalWritePerMfma:0.375 */
/*  mfmaIndex:60  */
v_mfma_f32_16x16x4_f32 v[0+0:3+0], v[vgprValuB_X15_I0+0+0+0], v[vgprValuA_X15_I0+0+0+0], v[0:3]
/*  mfmaIndex:61  */
s_setprio 3                                        // store optimization
v_mfma_f32_16x16x4_f32 v[4+0:7+0], v[vgprValuB_X15_I0+0+0+0], v[vgprValuA_X15_I0+1+0+0], v[4:7]
/*  mfmaIndex:62  */
v_mfma_f32_16x16x4_f32 v[12+0:15+0], v[vgprValuB_X15_I0+1+0+0], v[vgprValuA_X15_I0+1+0+0], v[12:15]
/*  mfmaIndex:63  */
v_mfma_f32_16x16x4_f32 v[8+0:11+0], v[vgprValuB_X15_I0+1+0+0], v[vgprValuA_X15_I0+0+0+0], v[8:11]

PrefetchGlobalLastIterEnd_5:


/******************************************/
/* Tail Loop                              */
/******************************************/


/* local write reset offsets a */


	;; [unrolled: 1-line block ×4, first 2 shown]
/* local write reset offsets b */


	;; [unrolled: 1-line block ×4, first 2 shown]
//numIterL = (((sizeL % LOCAL_DEPTHU) + LOCAL_SPLITU - 1) / LOCAL_SPLITU)
s_and_b32 s[sgprLoopCounterL], 63, s[sgprSizesSum+0] // s[sgprLoopCounterL] = s[sgprSizesSum+0] % 64
s_cmp_eq_u32 s[sgprLoopCounterL], 0x0              // numIterL == 0
s_cbranch_scc1 SkipTailLoopL_8                     // skip to end of tail loop b/c numIter==0
s_mov_b32 s[sgprOrigLoopCounter], 0                // repurpose to count each localRead increment


/* Update M0 for DTLDS */



/* global read a */

/* g2l=0, load component 0 */
_buffer_load_b32 v[vgprG2LA+0+0], v[vgprGlobalReadOffsetA+0], s[sgprSrdA:sgprSrdA+3], 0, offen offset:0 // load one buffer value
/* g2l=0, load component 1 */
_buffer_load_b32 v[vgprG2LA+0+1], v[vgprGlobalReadOffsetA+0], s[sgprSrdA:sgprSrdA+3], 0, offen offset:4 // load one buffer value
	;; [unrolled: 2-line block ×32, first 2 shown]


/* Update M0 for DTLDS */


	;; [unrolled: 1-line block ×3, first 2 shown]
/* global read b */

/* g2l=0, load component 0 */
_buffer_load_b32 v[vgprG2LB+0+0], v[vgprGlobalReadOffsetB+0], s[sgprSrdB:sgprSrdB+3], 0, offen offset:0 // load one buffer value
/* g2l=0, load component 1 */
_buffer_load_b32 v[vgprG2LB+0+1], v[vgprGlobalReadOffsetB+0], s[sgprSrdB:sgprSrdB+3], 0, offen offset:4 // load one buffer value
	;; [unrolled: 2-line block ×8, first 2 shown]

s_waitcnt vmcnt(0)                                 // lgkmcnt=-1 vmcnt=02wait for global read

// Skip force waitcnt0
s_barrier //


/* Done global A/B reads */




/* local write a */

_ds_store_b128 v[vgprLocalWriteAddrA], v[vgprG2LA+0:vgprG2LA+0+3] offset:0 // lwoA_0_0_0_0 = (0*LSCA) + (0*LSPA)(*MT0I+PAD) = 0
_ds_store_b128 v[vgprLocalWriteAddrA], v[vgprG2LA+4:vgprG2LA+4+3] offset:4096 // lwoA_0_0_1_0 = (0*LSCA) + (1*LSPA)(*MT0I+PAD) = 4096
_ds_store_b128 v[vgprLocalWriteAddrA], v[vgprG2LA+8:vgprG2LA+8+3] offset:8192 // lwoA_0_0_2_0 = (0*LSCA) + (2*LSPA)(*MT0I+PAD) = 8192
_ds_store_b128 v[vgprLocalWriteAddrA], v[vgprG2LA+12:vgprG2LA+12+3] offset:12288 // lwoA_0_0_3_0 = (0*LSCA) + (3*LSPA)(*MT0I+PAD) = 12288
_ds_store_b128 v[vgprLocalWriteAddrA], v[vgprG2LA+16:vgprG2LA+16+3] offset:16384 // lwoA_0_0_4_0 = (0*LSCA) + (4*LSPA)(*MT0I+PAD) = 16384
_ds_store_b128 v[vgprLocalWriteAddrA], v[vgprG2LA+20:vgprG2LA+20+3] offset:20480 // lwoA_0_0_5_0 = (0*LSCA) + (5*LSPA)(*MT0I+PAD) = 20480
_ds_store_b128 v[vgprLocalWriteAddrA], v[vgprG2LA+24:vgprG2LA+24+3] offset:24576 // lwoA_0_0_6_0 = (0*LSCA) + (6*LSPA)(*MT0I+PAD) = 24576
_ds_store_b128 v[vgprLocalWriteAddrA], v[vgprG2LA+28:vgprG2LA+28+3] offset:28672 // lwoA_0_0_7_0 = (0*LSCA) + (7*LSPA)(*MT0I+PAD) = 28672


/* local write b */

_ds_store_b128 v[vgprLocalWriteAddrB], v[vgprG2LB+0:vgprG2LB+0+3] offset:0 // lwoB_0_0_0_0 = (0*LSCB) + (0*LSPB)(*MT1J+PAD) = 0
_ds_store_b128 v[vgprLocalWriteAddrB], v[vgprG2LB+4:vgprG2LB+4+3] offset:4096 // lwoB_0_0_1_0 = (0*LSCB) + (1*LSPB)(*MT1J+PAD) = 4096


/* Recalc local read offsets */


s_waitcnt lgkmcnt(0)                               // lgkmcnt=0 vmcnt=-15wait for local write

// Skip force waitcnt0
s_barrier //


/* local read reset offsets a */


	;; [unrolled: 1-line block ×3, first 2 shown]
/* local read reset offsets b */


	;; [unrolled: 1-line block ×3, first 2 shown]
/* local read init pointers a */


/* localReadInitPointers */


/* local read init pointers b */


/* localReadInitPointers */


/* tail loop: macs */

TailLoopBeginL_6:


/* local read a */

_ds_load_b32 v[vgprValuA_X0_I0+0], v[vgprLocalReadAddrA] offset:0 // L -> Reg lro=0 swapByteOffset=0 ti=128 vIdx=0 rIdx=0 oIdx=0 buffer=0 iui=0
_ds_load_b32 v[vgprValuA_X0_I0+1], v[vgprLocalReadAddrA] offset:4 // L -> Reg lro=0 swapByteOffset=0 ti=128 vIdx=0 rIdx=0 oIdx=0 buffer=0 iui=0


/* local read b */

_ds_load_b32 v[vgprValuB_X0_I0+0], v[vgprLocalReadAddrB] offset:0 // L -> Reg lro=0 swapByteOffset=0 ti=32 vIdx=0 rIdx=0 oIdx=0 buffer=0 iui=0
_ds_load_b32 v[vgprValuB_X0_I0+1], v[vgprLocalReadAddrB] offset:4 // L -> Reg lro=0 swapByteOffset=0 ti=32 vIdx=0 rIdx=0 oIdx=0 buffer=0 iui=0


/* local read inc a */

s_mov_b32 s31, 0x800                               // inc
_v_add_co_u32 v[vgprLocalReadAddrA], vcc, s31, v[vgprLocalReadAddrA] // lrA += 2048 (LSU*(MT+PAD)*bpe)


/* local read inc b */

s_mov_b32 s31, 0x200                               // inc
_v_add_co_u32 v[vgprLocalReadAddrB], vcc, s31, v[vgprLocalReadAddrB] // lrB += 512 (LSU*(MT+PAD)*bpe)

s_waitcnt lgkmcnt(0)                               // lgkmcnt=0 vmcnt=-14wait for local read


v_mfma_f32_16x16x4_f32 v[0+0:3+0], v[vgprValuB_X0_I0+0+0+0], v[vgprValuA_X0_I0+0+0+0], v[0:3]
v_mfma_f32_16x16x4_f32 v[4+0:7+0], v[vgprValuB_X0_I0+0+0+0], v[vgprValuA_X0_I0+1+0+0], v[4:7]
	;; [unrolled: 1-line block ×4, first 2 shown]


/* closeLoop loopL finalLoop=1 tailLoop=1 */
s_sub_i32 s[sgprLoopCounterL], s[sgprLoopCounterL], 0x4 // dec counterL (tailLoop)
s_add_u32 s[sgprOrigLoopCounter], s[sgprOrigLoopCounter], 0x4 // inc counterL
s_cmp_le_i32 s[sgprLoopCounterL], 0x0              // counterL<=0
s_cbranch_scc0 TailLoopBeginL_6                    // restart LoopL
TailLoopEndL_7:

SkipTailLoopL_8:

Summation_End_30:
s_setprio 0                                        // optimization store
/* endSummation: add vgpr [16...132) to pool */

/* Mapping of Acc register -> C Vgpr register */

/* Multiply MI out register with Alpha -> C Vgpr register */


/* shift vector components d0 */

v_mov_b32 v17, s[sgprWorkGroup0]                   // 
v_mul_i32_i24 v17, -0x80, v17                      // wg*MT
_v_add_co_u32 v17, vcc, s[sgprSizesFree+0], v17    // wgMT = Size - wg*MT
v_mov_b32 v18, 0x80                                // MT
v_min_u32 v17, v18, v17                            // wgMT = (wgMT < MT) ? wgMT : MT
v_lshrrev_b32 v16, 6, v[vgprSerial]                // v16 = v[vgprSerial] / 64
v_and_b32 v19, 3, v16                              // v19 = v16 % 4
v_lshrrev_b32 v16, 5, v17                          // v16 = v17 / 32
v_and_b32 v20, 3, v16                              // v20 = v16 % 4
v_cmp_eq_u32 s[32:33], v20, v19                    // wave_id == block_belong_to_wave?
v_cndmask_b32 v17, v18, v17, s[32:33]              // wgMT = (wgMT < MT) ? wgMT : MT

/* mbReg: which mb block need to shift, mb(matrixInstCoal(16) * VectorWidth(2)) */
v_lshrrev_b32 v18, 5, v17                          // v18 = v17 / 32
v_lshlrev_b32 v20, 0x0, v19                        // v20 = v19 * 1
_v_sub_u32 v18, v18, v20                           // 

/* gbReg: glvw block id */
v_lshrrev_b32 v20, 2, v17                          // v20 = v17 / 4

/* tgbReg: glvw block id */
v_lshrrev_b32 v16, 0, v[vgprSerial]                // v16 = v[vgprSerial] / 1
v_and_b32 v21, 15, v16                             // v21 = v16 % 16
v_lshlrev_b32 v21, 0x1, v21                        // v21 = v21 * 2
v_lshrrev_b32 v21, 2, v21                          // v21 = v21 / 4
v_lshlrev_b32 v19, 0x3, v19                        // v19 = v19 * 8
_v_add_co_u32 v21, vcc, v19, v21                   // tgbReg = (tid_coal * continOut) / GLVW
_v_sub_u32 v20, v20, v21                           // 

/* vwReg: glvw in which vw block? */
v_and_b32 v19, 1, v17                              // permute register between threads
v_lshrrev_b32 v19, 2, v19                          // permute register between threads

/* rReg : reminder of M_size % GlobalLoadVectorWidth */
v_and_b32 v21, 3, v17                              // v21 = v17 % 4
v_cmp_eq_u32 vcc, v21, 0x1                         // wgMT%VW == 1
s_cbranch_vccnz label_0031                         // branch to shift d0 r=1
v_cmp_eq_u32 vcc, v21, 0x2                         // wgMT%VW == 2
s_cbranch_vccnz label_0034                         // branch to shift d0 r=2
v_cmp_eq_u32 vcc, v21, 0x3                         // wgMT%VW == 3
s_cbranch_vccnz label_0037                         // branch to shift d0 r=3
s_branch label_0040                                // no shifting

/******************************************/
/* shift d0 r=1                           */
/******************************************/
label_0031:
v_cmp_eq_u32 vcc, v18, 0x0                         // 
s_cbranch_vccnz label_0032                         // branch to shift d0 r1 mb0

/******************************************/
/* shift d0 r=2                           */
/******************************************/
label_0034:
v_cmp_eq_u32 vcc, v18, 0x0                         // 
s_cbranch_vccnz label_0035                         // branch to shift d0 r2 mb0

/******************************************/
/* shift d0 r=3                           */
/******************************************/
label_0037:
v_cmp_eq_u32 vcc, v18, 0x0                         // 
s_cbranch_vccnz label_0038                         // branch to shift d0 r3 mb0

/******************************************/
/* shift d0 r=1 mb=0                      */
/******************************************/
label_0032: // r1 mb0 
v_cmp_eq_u32 vcc, v19, 0x0                         // 
s_cbranch_vccnz label_0033                         // branch to shift d0 r1 mb0 vw0

/******************************************/
/* shift d0 r=2 mb=0                      */
/******************************************/
label_0035: // r2 mb0 
v_cmp_eq_u32 vcc, v19, 0x0                         // 
s_cbranch_vccnz label_0036                         // branch to shift d0 r2 mb0 vw0

/******************************************/
/* shift d0 r=3 mb=0                      */
/******************************************/
label_0038: // r3 mb0 
v_cmp_eq_u32 vcc, v19, 0x0                         // 
s_cbranch_vccnz label_0039                         // branch to shift d0 r3 mb0 vw0

/******************************************/
/* shift d0 r=1 mb=0 vw0                  */
/******************************************/
label_0033: // r1 mb0 vw0 
s_mov_b32 s32, 0                                   // 
_v_cmpx_eq_u32 s[32:33], v20, s32                  // is thread in edge glvw region
v_and_b32 v16, 63, v[vgprSerial]                   // permute register between threads
v_lshlrev_b32 v16, 2, v16                          // permute register between threads
v_mov_b32 v21, v4                                  // glvw 1 mb 0 tt1 0 r 0
ds_bpermute_b32 v21, v16, v21, offset:4            // permute edge values
s_waitcnt 0                                        // wait for swizzle operation
v_mov_b32 v0, v21                                  // 
v_mov_b32 v21, v12                                 // glvw 1 mb 0 tt1 1 r 0
ds_bpermute_b32 v21, v16, v21, offset:4            // permute edge values
s_waitcnt 0                                        // wait for swizzle operation
v_mov_b32 v8, v21                                  // 
v_mov_b32 v21, v5                                  // glvw 1 mb 0 tt1 2 r 0
ds_bpermute_b32 v21, v16, v21, offset:4            // permute edge values
s_waitcnt 0                                        // wait for swizzle operation
v_mov_b32 v1, v21                                  // 
v_mov_b32 v21, v13                                 // glvw 1 mb 0 tt1 3 r 0
ds_bpermute_b32 v21, v16, v21, offset:4            // permute edge values
s_waitcnt 0                                        // wait for swizzle operation
v_mov_b32 v9, v21                                  // 
v_mov_b32 v21, v6                                  // glvw 1 mb 0 tt1 4 r 0
ds_bpermute_b32 v21, v16, v21, offset:4            // permute edge values
s_waitcnt 0                                        // wait for swizzle operation
v_mov_b32 v2, v21                                  // 
v_mov_b32 v21, v14                                 // glvw 1 mb 0 tt1 5 r 0
ds_bpermute_b32 v21, v16, v21, offset:4            // permute edge values
s_waitcnt 0                                        // wait for swizzle operation
v_mov_b32 v10, v21                                 // 
v_mov_b32 v21, v7                                  // glvw 1 mb 0 tt1 6 r 0
ds_bpermute_b32 v21, v16, v21, offset:4            // permute edge values
s_waitcnt 0                                        // wait for swizzle operation
v_mov_b32 v3, v21                                  // 
v_mov_b32 v21, v15                                 // glvw 1 mb 0 tt1 7 r 0
ds_bpermute_b32 v21, v16, v21, offset:4            // permute edge values
s_waitcnt 0                                        // wait for swizzle operation
v_mov_b32 v11, v21                                 // 
s_mov_b64 s[32:33], 0xFFFFFFFFFFFFFFFF             // to restore all threads active
s_or_saveexec_b64 vcc, s[32:33]                    // all threads active
s_branch label_0040                                // done shifting


/******************************************/
/* shift d0 r=2 mb=0 vw0                  */
/******************************************/
label_0036: // r2 mb0 vw0 
s_mov_b32 s32, 0                                   // 
_v_cmpx_eq_u32 s[32:33], v20, s32                  // is thread in edge glvw region
v_and_b32 v16, 63, v[vgprSerial]                   // permute register between threads
v_lshlrev_b32 v16, 2, v16                          // permute register between threads
v_mov_b32 v21, v0                                  // glvw 2 mb 0 tt1 0 r 0
v_mov_b32 v22, v4                                  // glvw 2 mb 0 tt1 0 r 0
ds_bpermute_b32 v21, v16, v21, offset:4            // permute edge values
ds_bpermute_b32 v22, v16, v22, offset:4            // permute edge values
s_waitcnt 0                                        // wait for swizzle operation
v_mov_b32 v0, v21                                  // 
v_mov_b32 v4, v22                                  // 
v_mov_b32 v21, v8                                  // glvw 2 mb 0 tt1 1 r 0
v_mov_b32 v22, v12                                 // glvw 2 mb 0 tt1 1 r 0
ds_bpermute_b32 v21, v16, v21, offset:4            // permute edge values
ds_bpermute_b32 v22, v16, v22, offset:4            // permute edge values
s_waitcnt 0                                        // wait for swizzle operation
v_mov_b32 v8, v21                                  // 
v_mov_b32 v12, v22                                 // 
v_mov_b32 v21, v1                                  // glvw 2 mb 0 tt1 2 r 0
v_mov_b32 v22, v5                                  // glvw 2 mb 0 tt1 2 r 0
ds_bpermute_b32 v21, v16, v21, offset:4            // permute edge values
ds_bpermute_b32 v22, v16, v22, offset:4            // permute edge values
s_waitcnt 0                                        // wait for swizzle operation
v_mov_b32 v1, v21                                  // 
v_mov_b32 v5, v22                                  // 
v_mov_b32 v21, v9                                  // glvw 2 mb 0 tt1 3 r 0
v_mov_b32 v22, v13                                 // glvw 2 mb 0 tt1 3 r 0
ds_bpermute_b32 v21, v16, v21, offset:4            // permute edge values
ds_bpermute_b32 v22, v16, v22, offset:4            // permute edge values
s_waitcnt 0                                        // wait for swizzle operation
v_mov_b32 v9, v21                                  // 
v_mov_b32 v13, v22                                 // 
v_mov_b32 v21, v2                                  // glvw 2 mb 0 tt1 4 r 0
v_mov_b32 v22, v6                                  // glvw 2 mb 0 tt1 4 r 0
ds_bpermute_b32 v21, v16, v21, offset:4            // permute edge values
ds_bpermute_b32 v22, v16, v22, offset:4            // permute edge values
s_waitcnt 0                                        // wait for swizzle operation
v_mov_b32 v2, v21                                  // 
v_mov_b32 v6, v22                                  // 
v_mov_b32 v21, v10                                 // glvw 2 mb 0 tt1 5 r 0
v_mov_b32 v22, v14                                 // glvw 2 mb 0 tt1 5 r 0
ds_bpermute_b32 v21, v16, v21, offset:4            // permute edge values
ds_bpermute_b32 v22, v16, v22, offset:4            // permute edge values
s_waitcnt 0                                        // wait for swizzle operation
v_mov_b32 v10, v21                                 // 
v_mov_b32 v14, v22                                 // 
v_mov_b32 v21, v3                                  // glvw 2 mb 0 tt1 6 r 0
v_mov_b32 v22, v7                                  // glvw 2 mb 0 tt1 6 r 0
ds_bpermute_b32 v21, v16, v21, offset:4            // permute edge values
ds_bpermute_b32 v22, v16, v22, offset:4            // permute edge values
s_waitcnt 0                                        // wait for swizzle operation
v_mov_b32 v3, v21                                  // 
v_mov_b32 v7, v22                                  // 
v_mov_b32 v21, v11                                 // glvw 2 mb 0 tt1 7 r 0
v_mov_b32 v22, v15                                 // glvw 2 mb 0 tt1 7 r 0
ds_bpermute_b32 v21, v16, v21, offset:4            // permute edge values
ds_bpermute_b32 v22, v16, v22, offset:4            // permute edge values
s_waitcnt 0                                        // wait for swizzle operation
v_mov_b32 v11, v21                                 // 
v_mov_b32 v15, v22                                 // 
s_mov_b64 s[32:33], 0xFFFFFFFFFFFFFFFF             // to restore all threads active
s_or_saveexec_b64 vcc, s[32:33]                    // all threads active
s_branch label_0040                                // done shifting


/******************************************/
/* shift d0 r=3 mb=0 vw0                  */
/******************************************/
label_0039: // r3 mb0 vw0 
s_mov_b32 s32, 0                                   // 
_v_cmpx_eq_u32 s[32:33], v20, s32                  // is thread in edge glvw region
v_and_b32 v16, 63, v[vgprSerial]                   // permute register between threads
v_lshlrev_b32 v16, 2, v16                          // permute register between threads
v_mov_b32 v21, v4                                  // glvw 3 mb 0 tt1 0 r 0
v_mov_b32 v22, v0                                  // glvw 3 mb 0 tt1 0 r 0
ds_bpermute_b32 v22, v16, v22, offset:4            // permute edge values
s_waitcnt 0                                        // wait for swizzle operation
v_mov_b32 v0, v21                                  // 
v_mov_b32 v4, v22                                  // 
v_mov_b32 v21, v12                                 // glvw 3 mb 0 tt1 1 r 0
v_mov_b32 v22, v8                                  // glvw 3 mb 0 tt1 1 r 0
ds_bpermute_b32 v22, v16, v22, offset:4            // permute edge values
s_waitcnt 0                                        // wait for swizzle operation
v_mov_b32 v8, v21                                  // 
v_mov_b32 v12, v22                                 // 
v_mov_b32 v21, v5                                  // glvw 3 mb 0 tt1 2 r 0
v_mov_b32 v22, v1                                  // glvw 3 mb 0 tt1 2 r 0
ds_bpermute_b32 v22, v16, v22, offset:4            // permute edge values
s_waitcnt 0                                        // wait for swizzle operation
v_mov_b32 v1, v21                                  // 
v_mov_b32 v5, v22                                  // 
v_mov_b32 v21, v13                                 // glvw 3 mb 0 tt1 3 r 0
v_mov_b32 v22, v9                                  // glvw 3 mb 0 tt1 3 r 0
ds_bpermute_b32 v22, v16, v22, offset:4            // permute edge values
s_waitcnt 0                                        // wait for swizzle operation
v_mov_b32 v9, v21                                  // 
v_mov_b32 v13, v22                                 // 
v_mov_b32 v21, v6                                  // glvw 3 mb 0 tt1 4 r 0
v_mov_b32 v22, v2                                  // glvw 3 mb 0 tt1 4 r 0
ds_bpermute_b32 v22, v16, v22, offset:4            // permute edge values
s_waitcnt 0                                        // wait for swizzle operation
v_mov_b32 v2, v21                                  // 
v_mov_b32 v6, v22                                  // 
v_mov_b32 v21, v14                                 // glvw 3 mb 0 tt1 5 r 0
v_mov_b32 v22, v10                                 // glvw 3 mb 0 tt1 5 r 0
ds_bpermute_b32 v22, v16, v22, offset:4            // permute edge values
s_waitcnt 0                                        // wait for swizzle operation
v_mov_b32 v10, v21                                 // 
v_mov_b32 v14, v22                                 // 
v_mov_b32 v21, v7                                  // glvw 3 mb 0 tt1 6 r 0
v_mov_b32 v22, v3                                  // glvw 3 mb 0 tt1 6 r 0
ds_bpermute_b32 v22, v16, v22, offset:4            // permute edge values
s_waitcnt 0                                        // wait for swizzle operation
v_mov_b32 v3, v21                                  // 
v_mov_b32 v7, v22                                  // 
v_mov_b32 v21, v15                                 // glvw 3 mb 0 tt1 7 r 0
v_mov_b32 v22, v11                                 // glvw 3 mb 0 tt1 7 r 0
ds_bpermute_b32 v22, v16, v22, offset:4            // permute edge values
s_waitcnt 0                                        // wait for swizzle operation
v_mov_b32 v11, v21                                 // 
v_mov_b32 v15, v22                                 // 
s_mov_b64 s[32:33], 0xFFFFFFFFFFFFFFFF             // to restore all threads active
s_or_saveexec_b64 vcc, s[32:33]                    // all threads active
s_branch label_0040                                // done shifting

label_0040: // end shift0


/* shift vector components d1 */

v_mov_b32 v17, s[sgprWorkGroup1]                   // 
v_mul_i32_i24 v17, -0x20, v17                      // wg*MT
_v_add_co_u32 v17, vcc, s[sgprSizesFree+1], v17    // wgMT = Size - wg*MT
v_mov_b32 v18, 0x20                                // MT
v_min_u32 v17, v18, v17                            // wgMT = (wgMT < MT) ? wgMT : MT
v_lshrrev_b32 v16, 8, v[vgprSerial]                // v16 = v[vgprSerial] / 256
v_and_b32 v19, 0, v16                              // v19 = v16 % 1
v_lshrrev_b32 v16, 5, v17                          // v16 = v17 / 32
v_and_b32 v20, 0, v16                              // v20 = v16 % 1
v_cmp_eq_u32 s[32:33], v20, v19                    // wave_id == block_belong_to_wave?
v_cndmask_b32 v17, v18, v17, s[32:33]              // wgMT = (wgMT < MT) ? wgMT : MT

/* mbReg: which mb block need to shift, mb(matrixInstCoal(16) * VectorWidth(2)) */
v_lshrrev_b32 v18, 5, v17                          // v18 = v17 / 32
v_lshlrev_b32 v20, 0x0, v19                        // v20 = v19 * 1
_v_sub_u32 v18, v18, v20                           // 

/* gbReg: glvw block id */
v_lshrrev_b32 v20, 2, v17                          // v20 = v17 / 4

/* tgbReg: glvw block id */
v_lshrrev_b32 v16, 4, v[vgprSerial]                // v16 = v[vgprSerial] / 16
v_and_b32 v21, 3, v16                              // v21 = v16 % 4
v_lshlrev_b32 v21, 0x3, v21                        // v21 = v21 * 8
v_lshrrev_b32 v21, 2, v21                          // v21 = v21 / 4
v_lshlrev_b32 v19, 0x3, v19                        // v19 = v19 * 8
_v_add_co_u32 v21, vcc, v19, v21                   // tgbReg = (tid_coal * continOut) / GLVW
_v_sub_u32 v20, v20, v21                           // 

/* vwReg: glvw in which vw block? */
v_and_b32 v19, 7, v17                              // permute register between threads
v_lshrrev_b32 v19, 2, v19                          // permute register between threads

/* rReg : reminder of M_size % GlobalLoadVectorWidth */
v_and_b32 v21, 3, v17                              // v21 = v17 % 4
v_cmp_eq_u32 vcc, v21, 0x1                         // wgMT%VW == 1
s_cbranch_vccnz label_0043                         // branch to shift d1 r=1
v_cmp_eq_u32 vcc, v21, 0x2                         // wgMT%VW == 2
s_cbranch_vccnz label_0047                         // branch to shift d1 r=2
v_cmp_eq_u32 vcc, v21, 0x3                         // wgMT%VW == 3
s_cbranch_vccnz label_0051                         // branch to shift d1 r=3
s_branch label_0055                                // no shifting

/******************************************/
/* shift d1 r=1                           */
/******************************************/
label_0043:
v_cmp_eq_u32 vcc, v18, 0x0                         // 
s_cbranch_vccnz label_0044                         // branch to shift d1 r1 mb0

/******************************************/
/* shift d1 r=2                           */
/******************************************/
label_0047:
v_cmp_eq_u32 vcc, v18, 0x0                         // 
s_cbranch_vccnz label_0048                         // branch to shift d1 r2 mb0

/******************************************/
/* shift d1 r=3                           */
/******************************************/
label_0051:
v_cmp_eq_u32 vcc, v18, 0x0                         // 
s_cbranch_vccnz label_0052                         // branch to shift d1 r3 mb0

/******************************************/
/* shift d1 r=1 mb=0                      */
/******************************************/
label_0044: // r1 mb0 
v_cmp_eq_u32 vcc, v19, 0x0                         // 
s_cbranch_vccnz label_0045                         // branch to shift d1 r1 mb0 vw0
v_cmp_eq_u32 vcc, v19, 0x1                         // 
s_cbranch_vccnz label_0046                         // branch to shift d1 r1 mb0 vw1

/******************************************/
/* shift d1 r=2 mb=0                      */
/******************************************/
label_0048: // r2 mb0 
v_cmp_eq_u32 vcc, v19, 0x0                         // 
s_cbranch_vccnz label_0049                         // branch to shift d1 r2 mb0 vw0
v_cmp_eq_u32 vcc, v19, 0x1                         // 
s_cbranch_vccnz label_0050                         // branch to shift d1 r2 mb0 vw1

/******************************************/
/* shift d1 r=3 mb=0                      */
/******************************************/
label_0052: // r3 mb0 
v_cmp_eq_u32 vcc, v19, 0x0                         // 
s_cbranch_vccnz label_0053                         // branch to shift d1 r3 mb0 vw0
v_cmp_eq_u32 vcc, v19, 0x1                         // 
s_cbranch_vccnz label_0054                         // branch to shift d1 r3 mb0 vw1

/******************************************/
/* shift d1 r=1 mb=0 vw0                  */
/******************************************/
label_0045: // r1 mb0 vw0 
s_mov_b32 s32, 0                                   // 
_v_cmpx_eq_u32 s[32:33], v20, s32                  // is thread in edge glvw region
v_and_b32 v16, 63, v[vgprSerial]                   // permute register between threads
v_lshlrev_b32 v16, 2, v16                          // permute register between threads
v_mov_b32 v21, v9                                  // glvw 1 mb 0 tt1 0 r 0
v_mov_b32 v0, v21                                  // 
v_mov_b32 v21, v13                                 // glvw 1 mb 0 tt1 1 r 0
v_mov_b32 v4, v21                                  // 
s_mov_b64 s[32:33], 0xFFFFFFFFFFFFFFFF             // to restore all threads active
s_or_saveexec_b64 vcc, s[32:33]                    // all threads active
s_branch label_0055                                // done shifting


/******************************************/
/* shift d1 r=1 mb=0 vw1                  */
/******************************************/
label_0046: // r1 mb0 vw1 
s_mov_b32 s32, 1                                   // 
_v_cmpx_eq_u32 s[32:33], v20, s32                  // is thread in edge glvw region
v_and_b32 v16, 63, v[vgprSerial]                   // permute register between threads
v_lshlrev_b32 v16, 2, v16                          // permute register between threads
v_mov_b32 v21, v11                                 // glvw 1 mb 0 tt1 0 r 0
v_mov_b32 v2, v21                                  // 
v_mov_b32 v21, v15                                 // glvw 1 mb 0 tt1 1 r 0
v_mov_b32 v6, v21                                  // 
s_mov_b64 s[32:33], 0xFFFFFFFFFFFFFFFF             // to restore all threads active
s_or_saveexec_b64 vcc, s[32:33]                    // all threads active
s_branch label_0055                                // done shifting


/******************************************/
/* shift d1 r=2 mb=0 vw0                  */
/******************************************/
label_0049: // r2 mb0 vw0 
s_mov_b32 s32, 0                                   // 
_v_cmpx_eq_u32 s[32:33], v20, s32                  // is thread in edge glvw region
v_and_b32 v16, 63, v[vgprSerial]                   // permute register between threads
v_lshlrev_b32 v16, 2, v16                          // permute register between threads
v_mov_b32 v21, v1                                  // glvw 2 mb 0 tt1 0 r 0
v_mov_b32 v22, v9                                  // glvw 2 mb 0 tt1 0 r 0
v_mov_b32 v0, v21                                  // 
v_mov_b32 v8, v22                                  // 
v_mov_b32 v21, v5                                  // glvw 2 mb 0 tt1 1 r 0
v_mov_b32 v22, v13                                 // glvw 2 mb 0 tt1 1 r 0
v_mov_b32 v4, v21                                  // 
v_mov_b32 v12, v22                                 // 
s_mov_b64 s[32:33], 0xFFFFFFFFFFFFFFFF             // to restore all threads active
s_or_saveexec_b64 vcc, s[32:33]                    // all threads active
s_branch label_0055                                // done shifting


/******************************************/
/* shift d1 r=2 mb=0 vw1                  */
/******************************************/
label_0050: // r2 mb0 vw1 
s_mov_b32 s32, 1                                   // 
_v_cmpx_eq_u32 s[32:33], v20, s32                  // is thread in edge glvw region
v_and_b32 v16, 63, v[vgprSerial]                   // permute register between threads
v_lshlrev_b32 v16, 2, v16                          // permute register between threads
v_mov_b32 v21, v3                                  // glvw 2 mb 0 tt1 0 r 0
v_mov_b32 v22, v11                                 // glvw 2 mb 0 tt1 0 r 0
v_mov_b32 v2, v21                                  // 
v_mov_b32 v10, v22                                 // 
v_mov_b32 v21, v7                                  // glvw 2 mb 0 tt1 1 r 0
v_mov_b32 v22, v15                                 // glvw 2 mb 0 tt1 1 r 0
v_mov_b32 v6, v21                                  // 
v_mov_b32 v14, v22                                 // 
s_mov_b64 s[32:33], 0xFFFFFFFFFFFFFFFF             // to restore all threads active
s_or_saveexec_b64 vcc, s[32:33]                    // all threads active
s_branch label_0055                                // done shifting


/******************************************/
/* shift d1 r=3 mb=0 vw0                  */
/******************************************/
label_0053: // r3 mb0 vw0 
s_mov_b32 s32, 0                                   // 
_v_cmpx_eq_u32 s[32:33], v20, s32                  // is thread in edge glvw region
v_and_b32 v16, 63, v[vgprSerial]                   // permute register between threads
v_lshlrev_b32 v16, 2, v16                          // permute register between threads
v_mov_b32 v21, v8                                  // glvw 3 mb 0 tt1 0 r 0
v_mov_b32 v22, v1                                  // glvw 3 mb 0 tt1 0 r 0
	;; [unrolled: 1-line block ×3, first 2 shown]
v_mov_b32 v0, v21                                  // 
v_mov_b32 v8, v22                                  // 
	;; [unrolled: 1-line block ×3, first 2 shown]
v_mov_b32 v21, v12                                 // glvw 3 mb 0 tt1 1 r 0
v_mov_b32 v22, v5                                  // glvw 3 mb 0 tt1 1 r 0
v_mov_b32 v23, v13                                 // glvw 3 mb 0 tt1 1 r 0
v_mov_b32 v4, v21                                  // 
v_mov_b32 v12, v22                                 // 
v_mov_b32 v5, v23                                  // 
s_mov_b64 s[32:33], 0xFFFFFFFFFFFFFFFF             // to restore all threads active
s_or_saveexec_b64 vcc, s[32:33]                    // all threads active
s_branch label_0055                                // done shifting


/******************************************/
/* shift d1 r=3 mb=0 vw1                  */
/******************************************/
label_0054: // r3 mb0 vw1 
s_mov_b32 s32, 1                                   // 
_v_cmpx_eq_u32 s[32:33], v20, s32                  // is thread in edge glvw region
v_and_b32 v16, 63, v[vgprSerial]                   // permute register between threads
v_lshlrev_b32 v16, 2, v16                          // permute register between threads
v_mov_b32 v21, v10                                 // glvw 3 mb 0 tt1 0 r 0
v_mov_b32 v22, v3                                  // glvw 3 mb 0 tt1 0 r 0
v_mov_b32 v23, v11                                 // glvw 3 mb 0 tt1 0 r 0
v_mov_b32 v2, v21                                  // 
v_mov_b32 v10, v22                                 // 
v_mov_b32 v3, v23                                  // 
v_mov_b32 v21, v14                                 // glvw 3 mb 0 tt1 1 r 0
v_mov_b32 v22, v7                                  // glvw 3 mb 0 tt1 1 r 0
v_mov_b32 v23, v15                                 // glvw 3 mb 0 tt1 1 r 0
v_mov_b32 v6, v21                                  // 
v_mov_b32 v14, v22                                 // 
v_mov_b32 v7, v23                                  // 
s_mov_b64 s[32:33], 0xFFFFFFFFFFFFFFFF             // to restore all threads active
s_or_saveexec_b64 vcc, s[32:33]                    // all threads active
s_branch label_0055                                // done shifting

label_0055: // end shift0


	;; [unrolled: 1-line block ×3, first 2 shown]
/* not-LocalSplitU: global write indices */

/* computeStoreVgprs */
v_lshrrev_b32 v20, 6, v[vgprSerial]                // v20 = v[vgprSerial] / 64
v_and_b32 v17, 63, v[vgprSerial]                   // v17 = v[vgprSerial] % 64
v_lshrrev_b32 v17, 4, v17                          // v17 = v17 / 16
v_lshlrev_b32 v17, 0x2, v17                        // thread0 * continuous_output
v_lshrrev_b32 v21, 2, v20                          // v21 = v20 / 4
v_mul_lo_u32 v21, 0x10, v21                        // wave coordination offset 1
_v_add_lshl_u32 v17, v21, v17, 1                   // coordination 1 = vwb *(wave_id1 + tid1)
v_mul_lo_u32 v18, v17, s[sgprStrideC1J]            //  offset 1
v_mul_lo_u32 v19, v17, s[sgprStrideD1J]            //  offset 1
v_and_b32 v21, 3, v20                              // v21 = v20 % 4
v_mul_lo_u32 v21, 0x10, v21                        // wave coordination offset 0
v_and_b32 v16, 15, v[vgprSerial]                   // v16 = v[vgprSerial] % 16
_v_add_lshl_u32 v16, v21, v16, 1                   // coordination 0 = vwa *(wave_id0 + tid0)
s_mul_i32 s31, 128, s[sgprWorkGroup0]              // wgp0 * MT0
_v_add_u32 v16, s31, v16                           // coord 0 = (tid0/MI_m)*4 + waveG0*MIB_m + MT0*SG0
s_mul_i32 s31, 32, s[sgprWorkGroup1]               // wgp1 * MT1
_v_add_u32 v17, s31, v17                           // coord 1 = (tid0%MI_m) + waveG1*MIB_n + MT1*SG1


/* not-LocalSplitU: global write */

s_cmpk_eq_u32 s[sgprBeta], 0x0                     // Beta == 0
s_cbranch_scc0 GW_Beta_73                          // Branch if Beta is not zero

s_and_b32 s32, 127, s[sgprSizeI]                   // s32 = s[sgprSizeI] % 128
s_add_u32 s33, -0x1, s[sgprNumWorkGroups0]         // 
s_cmp_ge_u32 s[sgprWorkGroup0], s33                // wg0 >= nwg0-1 ?
s_cselect_b32 s32, s32, 0                          // set rMT0
s_cmpk_gt_u32 s32, 0x0                             // rMT0 > 0
s_cbranch_scc1 GW_B0_E1_64                         // jump if edges required
s_and_b32 s32, 31, s[sgprSizeJ]                    // s32 = s[sgprSizeJ] % 32
s_add_u32 s33, -0x1, s[sgprNumWorkGroups1]         // 
s_cmp_ge_u32 s[sgprWorkGroup1], s33                // wg1 >= nwg1-1
s_cselect_b32 s32, s32, 0                          // set rMT1
s_cmpk_gt_u32 s32, 0x0                             // rMT1 > 0
s_cbranch_scc1 GW_B0_E1_64                         // jump if edges required
GW_B0_E0_61:

/* edge=0, allocate 2 sgpr. perBatchTmpS=2 perBatchMaskS=0 perElementMaskS=0 elementsPerBatch=114 */
/* optSingleColVgpr=1 optSharedColVgpr=0 optSGPRUsage=BufferLoad_Mask optSrdIncForRow=1 */
s_sleep 3 // optimization: sync and wait
s_barrier

/******************************************/
/* Global Write Alpha Batch #0 (d1,d0,vc1,vc0) = */
/*    (0,0,0,0:vw2); (0,0,1,0:vw2); (0,0,2,0:vw2); (0,0,3,0:vw2); (0,0,4,0:vw2); (0,0,5,0:vw2); (0,0,6,0:vw2); (0,0,7,0:vw2) */
/******************************************/

/* calc coords, apply mask, and issue loads (if necessary) */
/* (d1,vc1,d0,vc0)=(0,0,0,0) */
/* (d1,vc1,d0,vc0)=(0,1,0,0) */
	;; [unrolled: 1-line block ×8, first 2 shown]
_v_add_lshl_u32 v22, v19, v16, 0x2                 // optSingleColVgpr scaleToBpe: sharedAddrVgpr <- cinRowPtr + coord0, scaled by BPE. BSHERE:coord0=16, coord0Vgpr=16

/* rC *= alpha batchElements=[(0, 0, 0, 0), (0, 0, 1, 0), (0, 0, 2, 0), (0, 0, 3, 0), (0, 0, 4, 0), (0, 0, 5, 0), (0, 0, 6, 0), (0, 0, 7, 0)] */
v_mul_f32 v[vgprValuC+24], s[sgprAlpha], v[vgprValuC+0] // Multiply MI out reg with alpha
v_mul_f32 v[vgprValuC+25], s[sgprAlpha], v[vgprValuC+4] // Multiply MI out reg with alpha
	;; [unrolled: 1-line block ×16, first 2 shown]

/* apply mask, calc new C and issue writes */
_buffer_store_b64 v[24:25], v22, s[sgprSrdD:sgprSrdD+3], 0, offen, offset:0,  sc0 sc1 // store D
s_lshl_b32  s32, s[sgprStrideD1J], 2               // incToNextRow: Scale by BPE
s_add_u32  s[sgprSrdD+0], s[sgprSrdD+0], s32       // incToNextRow: gra SRD += inc(lower)
s_addc_u32  s[sgprSrdD+1], s[sgprSrdD+1], 0        // incToNextRow: gra SRD += inc(upper)
_buffer_store_b64 v[26:27], v22, s[sgprSrdD:sgprSrdD+3], 0, offen, offset:0,  sc0 sc1 // store D
s_lshl_b32  s32, s[sgprStrideD1J], 2               // incToNextRow: Scale by BPE
s_add_u32  s[sgprSrdD+0], s[sgprSrdD+0], s32       // incToNextRow: gra SRD += inc(lower)
s_addc_u32  s[sgprSrdD+1], s[sgprSrdD+1], 0        // incToNextRow: gra SRD += inc(upper)
	;; [unrolled: 4-line block ×7, first 2 shown]
_buffer_store_b64 v[38:39], v22, s[sgprSrdD:sgprSrdD+3], 0, offen, offset:0,  sc0 sc1 // store D
s_nop 0                                            // 1 wait state required when next inst writes vgprs held by previous dwordx4 store inst
s_branch label_GW_End_72                           // jump to end
GW_B0_E1_64:

/* edge=1, allocate 6 sgpr. perBatchTmpS=4 perBatchMaskS=2 perElementMaskS=0 elementsPerBatch=115 */
/* optSingleColVgpr=0 optSharedColVgpr=0 optSGPRUsage=BufferLoad_Edge_Mask optSrdIncForRow=0 */
s_sleep 3 // optimization: sync and wait
s_barrier

/******************************************/
/* Global Write Alpha Edge Batch #0 (d1,d0,vc1,vc0) = */
/*    (0,0,0,0:vw1); (0,0,0,1:vw1); (0,0,1,0:vw1); (0,0,1,1:vw1); (0,0,2,0:vw1); (0,0,2,1:vw1); (0,0,3,0:vw1); (0,0,3,1:vw1); (0,0,4,0:vw1); (0,0,4,1:vw1); (0,0,5,0:vw1); (0,0,5,1:vw1); (0,0,6,0:vw1); (0,0,6,1:vw1); (0,0,7,0:vw1); (0,0,7,1:vw1) */
/******************************************/

/* calc coords, apply mask, and issue loads (if necessary) */
/* (d1,vc1,d0,vc0)=(0,0,0,0) */
v_cmp_lt_u32 s[52:53], v16, s[sgprSizeI]           // coord0 < size0
v_cmp_lt_u32 s[56:57], v17, s[sgprSizeJ]           // coord1 < size1
s_and_b64 s[56:57], s[52:53], s[56:57]             // in0 && in1
_v_add_lshl_u32 v22, v19, v16, 0x2                 // scaleToBpe: accumulate d0 lower and *= bpe into Cin addr
v_cndmask_b32 v22, -1, v22, s[56:57]               // LDD clip if OOB. offset
/* (d1,vc1,d0,vc0)=(0,0,0,1) */
_v_add_co_u32 v20, vcc, v16, 1                     // coord0.1: coord0 += d0*sg0*VW + vc0
v_cmp_lt_u32 s[52:53], v20, s[sgprSizeI]           // coord0 < size0
v_cmp_lt_u32 s[56:57], v17, s[sgprSizeJ]           // coord1 < size1
s_and_b64 s[56:57], s[52:53], s[56:57]             // in0 && in1
_v_add_lshl_u32 v24, v19, v20, 0x2                 // scaleToBpe: accumulate d0 lower and *= bpe into Cin addr
v_cndmask_b32 v24, -1, v24, s[56:57]               // LDD clip if OOB. offset
/* (d1,vc1,d0,vc0)=(0,1,0,0) */
_v_add_co_u32 v17, vcc, v17, 1                     // coord1.1: coord1Vgpr += d1*sg1*VW + vc1

/* Fix for UseInitialStridesCD, emitAddressSetupCode */
_v_add_u32 v18, v18, s[sgprStrideC1J]              // ROWINC- Move cinRowPtr to next row
_v_add_u32 v19, v19, s[sgprStrideD1J]              // Move coutRowPtr to next row
v_cmp_lt_u32 s[52:53], v16, s[sgprSizeI]           // coord0 < size0
v_cmp_lt_u32 s[56:57], v17, s[sgprSizeJ]           // coord1 < size1
s_and_b64 s[56:57], s[52:53], s[56:57]             // in0 && in1
_v_add_lshl_u32 v26, v19, v16, 0x2                 // scaleToBpe: accumulate d0 lower and *= bpe into Cin addr
v_cndmask_b32 v26, -1, v26, s[56:57]               // LDD clip if OOB. offset
/* (d1,vc1,d0,vc0)=(0,1,0,1) */
_v_add_co_u32 v20, vcc, v16, 1                     // coord0.1: coord0 += d0*sg0*VW + vc0
v_cmp_lt_u32 s[52:53], v20, s[sgprSizeI]           // coord0 < size0
v_cmp_lt_u32 s[56:57], v17, s[sgprSizeJ]           // coord1 < size1
s_and_b64 s[56:57], s[52:53], s[56:57]             // in0 && in1
_v_add_lshl_u32 v28, v19, v20, 0x2                 // scaleToBpe: accumulate d0 lower and *= bpe into Cin addr
v_cndmask_b32 v28, -1, v28, s[56:57]               // LDD clip if OOB. offset
/* (d1,vc1,d0,vc0)=(0,2,0,0) */
_v_add_co_u32 v17, vcc, v17, 1                     // coord1.1: coord1Vgpr += d1*sg1*VW + vc1

/* Fix for UseInitialStridesCD, emitAddressSetupCode */
_v_add_u32 v18, v18, s[sgprStrideC1J]              // ROWINC- Move cinRowPtr to next row
_v_add_u32 v19, v19, s[sgprStrideD1J]              // Move coutRowPtr to next row
	;; [unrolled: 18-line block ×7, first 2 shown]
v_cmp_lt_u32 s[52:53], v16, s[sgprSizeI]           // coord0 < size0
v_cmp_lt_u32 s[56:57], v17, s[sgprSizeJ]           // coord1 < size1
s_and_b64 s[56:57], s[52:53], s[56:57]             // in0 && in1
_v_add_lshl_u32 v50, v19, v16, 0x2                 // scaleToBpe: accumulate d0 lower and *= bpe into Cin addr
v_cndmask_b32 v50, -1, v50, s[56:57]               // LDD clip if OOB. offset
/* (d1,vc1,d0,vc0)=(0,7,0,1) */
_v_add_co_u32 v20, vcc, v16, 1                     // coord0.1: coord0 += d0*sg0*VW + vc0
v_cmp_lt_u32 s[52:53], v20, s[sgprSizeI]           // coord0 < size0
v_cmp_lt_u32 s[56:57], v17, s[sgprSizeJ]           // coord1 < size1
s_and_b64 s[56:57], s[52:53], s[56:57]             // in0 && in1
_v_add_lshl_u32 v52, v19, v20, 0x2                 // scaleToBpe: accumulate d0 lower and *= bpe into Cin addr
v_cndmask_b32 v52, -1, v52, s[56:57]               // LDD clip if OOB. offset

/* rC *= alpha batchElements=[(0, 0, 0, 0), (0, 0, 0, 1), (0, 0, 1, 0), (0, 0, 1, 1), (0, 0, 2, 0), (0, 0, 2, 1), (0, 0, 3, 0), (0, 0, 3, 1), (0, 0, 4, 0), (0, 0, 4, 1), (0, 0, 5, 0), (0, 0, 5, 1), (0, 0, 6, 0), (0, 0, 6, 1), (0, 0, 7, 0), (0, 0, 7, 1)] */
v_mul_f32 v[vgprValuC+23], s[sgprAlpha], v[vgprValuC+0] // Multiply MI out reg with alpha
v_mul_f32 v[vgprValuC+25], s[sgprAlpha], v[vgprValuC+4] // Multiply MI out reg with alpha
	;; [unrolled: 1-line block ×16, first 2 shown]

/* apply mask, calc new C and issue writes */
_buffer_store_b32 v23, v22, s[sgprSrdD:sgprSrdD+3], 0, offen, offset:0,  sc0 sc1 // store D
_buffer_store_b32 v25, v24, s[sgprSrdD:sgprSrdD+3], 0, offen, offset:0,  sc0 sc1 // store D
_buffer_store_b32 v27, v26, s[sgprSrdD:sgprSrdD+3], 0, offen, offset:0,  sc0 sc1 // store D
_buffer_store_b32 v29, v28, s[sgprSrdD:sgprSrdD+3], 0, offen, offset:0,  sc0 sc1 // store D
_buffer_store_b32 v31, v30, s[sgprSrdD:sgprSrdD+3], 0, offen, offset:0,  sc0 sc1 // store D
_buffer_store_b32 v33, v32, s[sgprSrdD:sgprSrdD+3], 0, offen, offset:0,  sc0 sc1 // store D
_buffer_store_b32 v35, v34, s[sgprSrdD:sgprSrdD+3], 0, offen, offset:0,  sc0 sc1 // store D
_buffer_store_b32 v37, v36, s[sgprSrdD:sgprSrdD+3], 0, offen, offset:0,  sc0 sc1 // store D
_buffer_store_b32 v39, v38, s[sgprSrdD:sgprSrdD+3], 0, offen, offset:0,  sc0 sc1 // store D
_buffer_store_b32 v41, v40, s[sgprSrdD:sgprSrdD+3], 0, offen, offset:0,  sc0 sc1 // store D
_buffer_store_b32 v43, v42, s[sgprSrdD:sgprSrdD+3], 0, offen, offset:0,  sc0 sc1 // store D
_buffer_store_b32 v45, v44, s[sgprSrdD:sgprSrdD+3], 0, offen, offset:0,  sc0 sc1 // store D
_buffer_store_b32 v47, v46, s[sgprSrdD:sgprSrdD+3], 0, offen, offset:0,  sc0 sc1 // store D
_buffer_store_b32 v49, v48, s[sgprSrdD:sgprSrdD+3], 0, offen, offset:0,  sc0 sc1 // store D
_buffer_store_b32 v51, v50, s[sgprSrdD:sgprSrdD+3], 0, offen, offset:0,  sc0 sc1 // store D
_buffer_store_b32 v53, v52, s[sgprSrdD:sgprSrdD+3], 0, offen, offset:0,  sc0 sc1 // store D
s_nop 0                                            // 1 wait state required when next inst writes vgprs held by previous dwordx4 store inst
s_branch label_GW_End_72                           // jump to end
GW_Beta_73:
s_and_b32 s32, 127, s[sgprSizeI]                   // s32 = s[sgprSizeI] % 128
s_add_u32 s33, -0x1, s[sgprNumWorkGroups0]         // 
s_cmp_ge_u32 s[sgprWorkGroup0], s33                // wg0 >= nwg0-1 ?
s_cselect_b32 s32, s32, 0                          // set rMT0
s_cmpk_gt_u32 s32, 0x0                             // rMT0 > 0
s_cbranch_scc1 GW_B1_E1_71                         // jump if edges required
s_and_b32 s32, 31, s[sgprSizeJ]                    // s32 = s[sgprSizeJ] % 32
s_add_u32 s33, -0x1, s[sgprNumWorkGroups1]         // 
s_cmp_ge_u32 s[sgprWorkGroup1], s33                // wg1 >= nwg1-1
s_cselect_b32 s32, s32, 0                          // set rMT1
s_cmpk_gt_u32 s32, 0x0                             // rMT1 > 0
s_cbranch_scc1 GW_B1_E1_71                         // jump if edges required
GW_B1_E0_68:

/* edge=0, allocate 2 sgpr. perBatchTmpS=2 perBatchMaskS=0 perElementMaskS=0 elementsPerBatch=57 */
/* optSingleColVgpr=1 optSharedColVgpr=0 optSGPRUsage=BufferLoad_Mask optSrdIncForRow=1 */
s_sleep 3 // optimization: sync and wait
s_barrier

/******************************************/
/* Global Write Alpha Beta Batch #0 (d1,d0,vc1,vc0) = */
/*    (0,0,0,0:vw2); (0,0,1,0:vw2); (0,0,2,0:vw2); (0,0,3,0:vw2); (0,0,4,0:vw2); (0,0,5,0:vw2); (0,0,6,0:vw2); (0,0,7,0:vw2) */
/******************************************/

/* calc coords, apply mask, and issue loads (if necessary) */

/* rC *= alpha batchElements=[(0, 0, 0, 0), (0, 0, 1, 0), (0, 0, 2, 0), (0, 0, 3, 0), (0, 0, 4, 0), (0, 0, 5, 0), (0, 0, 6, 0), (0, 0, 7, 0)] */
v_mul_f32 v[vgprValuC+26], s[sgprAlpha], v[vgprValuC+0] // Multiply MI out reg with alpha
v_mul_f32 v[vgprValuC+27], s[sgprAlpha], v[vgprValuC+4] // Multiply MI out reg with alpha
	;; [unrolled: 1-line block ×16, first 2 shown]
/* (d1,vc1,d0,vc0)=(0,0,0,0) */
_v_add_lshl_u32 v23, v18, v16, 0x2                 // optSingleColVgpr scaleToBpe: sharedAddrVgpr <- cinRowPtr + coord0, scaled by BPE. BSHERE:coord0=16, coord0Vgpr=16
_buffer_load_b64 v[24:25], v23, s[sgprSrdC:sgprSrdC+3], 0, offen offset:0,  sc0 sc1 // load C for beta calc
/* (d1,vc1,d0,vc0)=(0,1,0,0) */
s_lshl_b32  s32, s[sgprStrideC1J], 2               // incToNextRow: Scale by BPE
s_add_u32  s[sgprSrdC+0], s[sgprSrdC+0], s32       // incToNextRow: gra SRD += inc(lower)
s_addc_u32  s[sgprSrdC+1], s[sgprSrdC+1], 0        // incToNextRow: gra SRD += inc(upper)
_buffer_load_b64 v[28:29], v23, s[sgprSrdC:sgprSrdC+3], 0, offen offset:0,  sc0 sc1 // load C for beta calc
/* (d1,vc1,d0,vc0)=(0,2,0,0) */
s_lshl_b32  s32, s[sgprStrideC1J], 2               // incToNextRow: Scale by BPE
s_add_u32  s[sgprSrdC+0], s[sgprSrdC+0], s32       // incToNextRow: gra SRD += inc(lower)
s_addc_u32  s[sgprSrdC+1], s[sgprSrdC+1], 0        // incToNextRow: gra SRD += inc(upper)
	;; [unrolled: 5-line block ×7, first 2 shown]
_buffer_load_b64 v[52:53], v23, s[sgprSrdC:sgprSrdC+3], 0, offen offset:0,  sc0 sc1 // load C for beta calc
_v_add_lshl_u32 v22, v19, v16, 0x2                 // optSingleColVgpr scaleToBpe: sharedAddrVgpr <- cinRowPtr + coord0, scaled by BPE. BSHERE:coord0=16, coord0Vgpr=16
s_sleep 3 // optimization: sync and wait
s_barrier

/* apply mask, calc new C and issue writes */

s_waitcnt vmcnt(7)                                 // wait C (interleaved) 7 = 8 - 0 + 0 - 1
_v_mac_f32 v[vgprValuC+26], v24, s[sgprBeta]       // finalSum = sum*alpha + C*beta
_v_mac_f32 v[vgprValuC+27], v25, s[sgprBeta]       // finalSum = sum*alpha + C*beta
_buffer_store_b64 v[26:27], v22, s[sgprSrdD:sgprSrdD+3], 0, offen, offset:0,  sc0 sc1 // store D

s_waitcnt vmcnt(7)                                 // wait C (interleaved) 7 = 8 - 1 + 1 - 1
_v_mac_f32 v[vgprValuC+30], v28, s[sgprBeta]       // finalSum = sum*alpha + C*beta
_v_mac_f32 v[vgprValuC+31], v29, s[sgprBeta]       // finalSum = sum*alpha + C*beta
s_lshl_b32  s32, s[sgprStrideD1J], 2               // incToNextRow: Scale by BPE
s_add_u32  s[sgprSrdD+0], s[sgprSrdD+0], s32       // incToNextRow: gra SRD += inc(lower)
s_addc_u32  s[sgprSrdD+1], s[sgprSrdD+1], 0        // incToNextRow: gra SRD += inc(upper)
_buffer_store_b64 v[30:31], v22, s[sgprSrdD:sgprSrdD+3], 0, offen, offset:0,  sc0 sc1 // store D

s_waitcnt vmcnt(7)                                 // wait C (interleaved) 7 = 8 - 2 + 2 - 1
_v_mac_f32 v[vgprValuC+34], v32, s[sgprBeta]       // finalSum = sum*alpha + C*beta
_v_mac_f32 v[vgprValuC+35], v33, s[sgprBeta]       // finalSum = sum*alpha + C*beta
s_lshl_b32  s32, s[sgprStrideD1J], 2               // incToNextRow: Scale by BPE
s_add_u32  s[sgprSrdD+0], s[sgprSrdD+0], s32       // incToNextRow: gra SRD += inc(lower)
s_addc_u32  s[sgprSrdD+1], s[sgprSrdD+1], 0        // incToNextRow: gra SRD += inc(upper)
	;; [unrolled: 8-line block ×7, first 2 shown]
_buffer_store_b64 v[54:55], v22, s[sgprSrdD:sgprSrdD+3], 0, offen, offset:0,  sc0 sc1 // store D
s_nop 0                                            // 1 wait state required when next inst writes vgprs held by previous dwordx4 store inst
s_branch label_GW_End_72                           // jump to end
GW_B1_E1_71:

/* edge=1, allocate 6 sgpr. perBatchTmpS=4 perBatchMaskS=2 perElementMaskS=0 elementsPerBatch=76 */
/* optSingleColVgpr=0 optSharedColVgpr=0 optSGPRUsage=BufferLoad_Edge_Mask optSrdIncForRow=0 */
s_sleep 3 // optimization: sync and wait
s_barrier

/******************************************/
/* Global Write Alpha Beta Edge Batch #0 (d1,d0,vc1,vc0) = */
/*    (0,0,0,0:vw1); (0,0,0,1:vw1); (0,0,1,0:vw1); (0,0,1,1:vw1); (0,0,2,0:vw1); (0,0,2,1:vw1); (0,0,3,0:vw1); (0,0,3,1:vw1); (0,0,4,0:vw1); (0,0,4,1:vw1); (0,0,5,0:vw1); (0,0,5,1:vw1); (0,0,6,0:vw1); (0,0,6,1:vw1); (0,0,7,0:vw1); (0,0,7,1:vw1) */
/******************************************/

/* calc coords, apply mask, and issue loads (if necessary) */

/* rC *= alpha batchElements=[(0, 0, 0, 0), (0, 0, 0, 1), (0, 0, 1, 0), (0, 0, 1, 1), (0, 0, 2, 0), (0, 0, 2, 1), (0, 0, 3, 0), (0, 0, 3, 1), (0, 0, 4, 0), (0, 0, 4, 1), (0, 0, 5, 0), (0, 0, 5, 1), (0, 0, 6, 0), (0, 0, 6, 1), (0, 0, 7, 0), (0, 0, 7, 1)] */
v_mul_f32 v[vgprValuC+24], s[sgprAlpha], v[vgprValuC+0] // Multiply MI out reg with alpha
v_mul_f32 v[vgprValuC+27], s[sgprAlpha], v[vgprValuC+4] // Multiply MI out reg with alpha
	;; [unrolled: 1-line block ×16, first 2 shown]
/* (d1,vc1,d0,vc0)=(0,0,0,0) */
v_cmp_lt_u32 s[52:53], v16, s[sgprSizeI]           // coord0 < size0
v_cmp_lt_u32 s[56:57], v17, s[sgprSizeJ]           // coord1 < size1
s_and_b64 s[56:57], s[52:53], s[56:57]             // in0 && in1
_v_add_lshl_u32 v22, v18, v16, 0x2                 // scaleToBpe: accumulate d0 lower and *= bpe into Cin addr
v_cndmask_b32 v22, -1, v22, s[56:57]               // LDC clip if OOB. offset
_buffer_load_b32 v23, v22, s[sgprSrdC:sgprSrdC+3], 0, offen offset:0,  sc0 sc1 // load C for beta calc
_v_add_lshl_u32 v22, v19, v16, 0x2                 // scaleToBpe: accumulate d0 lower and *= bpe into Cin addr
v_cndmask_b32 v22, -1, v22, s[56:57]               // LDD clip if OOB. offset
/* (d1,vc1,d0,vc0)=(0,0,0,1) */
_v_add_co_u32 v20, vcc, v16, 1                     // coord0.1: coord0 += d0*sg0*VW + vc0
v_cmp_lt_u32 s[52:53], v20, s[sgprSizeI]           // coord0 < size0
v_cmp_lt_u32 s[56:57], v17, s[sgprSizeJ]           // coord1 < size1
s_and_b64 s[56:57], s[52:53], s[56:57]             // in0 && in1
_v_add_lshl_u32 v25, v18, v20, 0x2                 // scaleToBpe: accumulate d0 lower and *= bpe into Cin addr
v_cndmask_b32 v25, -1, v25, s[56:57]               // LDC clip if OOB. offset
_buffer_load_b32 v26, v25, s[sgprSrdC:sgprSrdC+3], 0, offen offset:0,  sc0 sc1 // load C for beta calc
_v_add_lshl_u32 v25, v19, v20, 0x2                 // scaleToBpe: accumulate d0 lower and *= bpe into Cin addr
v_cndmask_b32 v25, -1, v25, s[56:57]               // LDD clip if OOB. offset
/* (d1,vc1,d0,vc0)=(0,1,0,0) */
_v_add_co_u32 v17, vcc, v17, 1                     // coord1.1: coord1Vgpr += d1*sg1*VW + vc1

/* Fix for UseInitialStridesCD, emitAddressSetupCode */
_v_add_u32 v18, v18, s[sgprStrideC1J]              // ROWINC- Move cinRowPtr to next row
_v_add_u32 v19, v19, s[sgprStrideD1J]              // Move coutRowPtr to next row
v_cmp_lt_u32 s[52:53], v16, s[sgprSizeI]           // coord0 < size0
v_cmp_lt_u32 s[56:57], v17, s[sgprSizeJ]           // coord1 < size1
s_and_b64 s[56:57], s[52:53], s[56:57]             // in0 && in1
_v_add_lshl_u32 v28, v18, v16, 0x2                 // scaleToBpe: accumulate d0 lower and *= bpe into Cin addr
v_cndmask_b32 v28, -1, v28, s[56:57]               // LDC clip if OOB. offset
_buffer_load_b32 v29, v28, s[sgprSrdC:sgprSrdC+3], 0, offen offset:0,  sc0 sc1 // load C for beta calc
_v_add_lshl_u32 v28, v19, v16, 0x2                 // scaleToBpe: accumulate d0 lower and *= bpe into Cin addr
v_cndmask_b32 v28, -1, v28, s[56:57]               // LDD clip if OOB. offset
/* (d1,vc1,d0,vc0)=(0,1,0,1) */
_v_add_co_u32 v20, vcc, v16, 1                     // coord0.1: coord0 += d0*sg0*VW + vc0
v_cmp_lt_u32 s[52:53], v20, s[sgprSizeI]           // coord0 < size0
v_cmp_lt_u32 s[56:57], v17, s[sgprSizeJ]           // coord1 < size1
s_and_b64 s[56:57], s[52:53], s[56:57]             // in0 && in1
_v_add_lshl_u32 v31, v18, v20, 0x2                 // scaleToBpe: accumulate d0 lower and *= bpe into Cin addr
v_cndmask_b32 v31, -1, v31, s[56:57]               // LDC clip if OOB. offset
_buffer_load_b32 v32, v31, s[sgprSrdC:sgprSrdC+3], 0, offen offset:0,  sc0 sc1 // load C for beta calc
_v_add_lshl_u32 v31, v19, v20, 0x2                 // scaleToBpe: accumulate d0 lower and *= bpe into Cin addr
v_cndmask_b32 v31, -1, v31, s[56:57]               // LDD clip if OOB. offset
/* (d1,vc1,d0,vc0)=(0,2,0,0) */
_v_add_co_u32 v17, vcc, v17, 1                     // coord1.1: coord1Vgpr += d1*sg1*VW + vc1

/* Fix for UseInitialStridesCD, emitAddressSetupCode */
_v_add_u32 v18, v18, s[sgprStrideC1J]              // ROWINC- Move cinRowPtr to next row
_v_add_u32 v19, v19, s[sgprStrideD1J]              // Move coutRowPtr to next row
	;; [unrolled: 24-line block ×7, first 2 shown]
v_cmp_lt_u32 s[52:53], v16, s[sgprSizeI]           // coord0 < size0
v_cmp_lt_u32 s[56:57], v17, s[sgprSizeJ]           // coord1 < size1
s_and_b64 s[56:57], s[52:53], s[56:57]             // in0 && in1
_v_add_lshl_u32 v64, v18, v16, 0x2                 // scaleToBpe: accumulate d0 lower and *= bpe into Cin addr
v_cndmask_b32 v64, -1, v64, s[56:57]               // LDC clip if OOB. offset
_buffer_load_b32 v65, v64, s[sgprSrdC:sgprSrdC+3], 0, offen offset:0,  sc0 sc1 // load C for beta calc
_v_add_lshl_u32 v64, v19, v16, 0x2                 // scaleToBpe: accumulate d0 lower and *= bpe into Cin addr
v_cndmask_b32 v64, -1, v64, s[56:57]               // LDD clip if OOB. offset
/* (d1,vc1,d0,vc0)=(0,7,0,1) */
_v_add_co_u32 v20, vcc, v16, 1                     // coord0.1: coord0 += d0*sg0*VW + vc0
v_cmp_lt_u32 s[52:53], v20, s[sgprSizeI]           // coord0 < size0
v_cmp_lt_u32 s[56:57], v17, s[sgprSizeJ]           // coord1 < size1
s_and_b64 s[56:57], s[52:53], s[56:57]             // in0 && in1
_v_add_lshl_u32 v67, v18, v20, 0x2                 // scaleToBpe: accumulate d0 lower and *= bpe into Cin addr
v_cndmask_b32 v67, -1, v67, s[56:57]               // LDC clip if OOB. offset
_buffer_load_b32 v68, v67, s[sgprSrdC:sgprSrdC+3], 0, offen offset:0,  sc0 sc1 // load C for beta calc
_v_add_lshl_u32 v67, v19, v20, 0x2                 // scaleToBpe: accumulate d0 lower and *= bpe into Cin addr
v_cndmask_b32 v67, -1, v67, s[56:57]               // LDD clip if OOB. offset
s_sleep 3 // optimization: sync and wait
s_barrier
s_waitcnt vmcnt(0)                                 // wait C

/* apply mask, calc new C and issue writes */
_v_mac_f32 v[vgprValuC+24], v23, s[sgprBeta]       // finalSum = sum*alpha + C*beta
_buffer_store_b32 v24, v22, s[sgprSrdD:sgprSrdD+3], 0, offen, offset:0,  sc0 sc1 // store D
_v_mac_f32 v[vgprValuC+27], v26, s[sgprBeta]       // finalSum = sum*alpha + C*beta
_buffer_store_b32 v27, v25, s[sgprSrdD:sgprSrdD+3], 0, offen, offset:0,  sc0 sc1 // store D
_v_mac_f32 v[vgprValuC+30], v29, s[sgprBeta]       // finalSum = sum*alpha + C*beta
_buffer_store_b32 v30, v28, s[sgprSrdD:sgprSrdD+3], 0, offen, offset:0,  sc0 sc1 // store D
_v_mac_f32 v[vgprValuC+33], v32, s[sgprBeta]       // finalSum = sum*alpha + C*beta
_buffer_store_b32 v33, v31, s[sgprSrdD:sgprSrdD+3], 0, offen, offset:0,  sc0 sc1 // store D
_v_mac_f32 v[vgprValuC+36], v35, s[sgprBeta]       // finalSum = sum*alpha + C*beta
_buffer_store_b32 v36, v34, s[sgprSrdD:sgprSrdD+3], 0, offen, offset:0,  sc0 sc1 // store D
_v_mac_f32 v[vgprValuC+39], v38, s[sgprBeta]       // finalSum = sum*alpha + C*beta
_buffer_store_b32 v39, v37, s[sgprSrdD:sgprSrdD+3], 0, offen, offset:0,  sc0 sc1 // store D
_v_mac_f32 v[vgprValuC+42], v41, s[sgprBeta]       // finalSum = sum*alpha + C*beta
_buffer_store_b32 v42, v40, s[sgprSrdD:sgprSrdD+3], 0, offen, offset:0,  sc0 sc1 // store D
_v_mac_f32 v[vgprValuC+45], v44, s[sgprBeta]       // finalSum = sum*alpha + C*beta
_buffer_store_b32 v45, v43, s[sgprSrdD:sgprSrdD+3], 0, offen, offset:0,  sc0 sc1 // store D
_v_mac_f32 v[vgprValuC+48], v47, s[sgprBeta]       // finalSum = sum*alpha + C*beta
_buffer_store_b32 v48, v46, s[sgprSrdD:sgprSrdD+3], 0, offen, offset:0,  sc0 sc1 // store D
_v_mac_f32 v[vgprValuC+51], v50, s[sgprBeta]       // finalSum = sum*alpha + C*beta
_buffer_store_b32 v51, v49, s[sgprSrdD:sgprSrdD+3], 0, offen, offset:0,  sc0 sc1 // store D
_v_mac_f32 v[vgprValuC+54], v53, s[sgprBeta]       // finalSum = sum*alpha + C*beta
_buffer_store_b32 v54, v52, s[sgprSrdD:sgprSrdD+3], 0, offen, offset:0,  sc0 sc1 // store D
_v_mac_f32 v[vgprValuC+57], v56, s[sgprBeta]       // finalSum = sum*alpha + C*beta
_buffer_store_b32 v57, v55, s[sgprSrdD:sgprSrdD+3], 0, offen, offset:0,  sc0 sc1 // store D
_v_mac_f32 v[vgprValuC+60], v59, s[sgprBeta]       // finalSum = sum*alpha + C*beta
_buffer_store_b32 v60, v58, s[sgprSrdD:sgprSrdD+3], 0, offen, offset:0,  sc0 sc1 // store D
_v_mac_f32 v[vgprValuC+63], v62, s[sgprBeta]       // finalSum = sum*alpha + C*beta
_buffer_store_b32 v63, v61, s[sgprSrdD:sgprSrdD+3], 0, offen, offset:0,  sc0 sc1 // store D
_v_mac_f32 v[vgprValuC+66], v65, s[sgprBeta]       // finalSum = sum*alpha + C*beta
_buffer_store_b32 v66, v64, s[sgprSrdD:sgprSrdD+3], 0, offen, offset:0,  sc0 sc1 // store D
_v_mac_f32 v[vgprValuC+69], v68, s[sgprBeta]       // finalSum = sum*alpha + C*beta
_buffer_store_b32 v69, v67, s[sgprSrdD:sgprSrdD+3], 0, offen, offset:0,  sc0 sc1 // store D
s_nop 0                                            // 1 wait state required when next inst writes vgprs held by previous dwordx4 store inst
s_branch label_GW_End_72                           // jump to end
label_GW_End_72:

label_0077:  /// KernelEnd
s_endpgm                                           // Kernel End

